;; amdgpu-corpus repo=ROCm/rocFFT kind=compiled arch=gfx1201 opt=O3
	.text
	.amdgcn_target "amdgcn-amd-amdhsa--gfx1201"
	.amdhsa_code_object_version 6
	.protected	fft_rtc_fwd_len3125_factors_5_5_5_5_5_wgs_125_tpt_125_halfLds_sp_op_CI_CI_unitstride_sbrr_dirReg ; -- Begin function fft_rtc_fwd_len3125_factors_5_5_5_5_5_wgs_125_tpt_125_halfLds_sp_op_CI_CI_unitstride_sbrr_dirReg
	.globl	fft_rtc_fwd_len3125_factors_5_5_5_5_5_wgs_125_tpt_125_halfLds_sp_op_CI_CI_unitstride_sbrr_dirReg
	.p2align	8
	.type	fft_rtc_fwd_len3125_factors_5_5_5_5_5_wgs_125_tpt_125_halfLds_sp_op_CI_CI_unitstride_sbrr_dirReg,@function
fft_rtc_fwd_len3125_factors_5_5_5_5_5_wgs_125_tpt_125_halfLds_sp_op_CI_CI_unitstride_sbrr_dirReg: ; @fft_rtc_fwd_len3125_factors_5_5_5_5_5_wgs_125_tpt_125_halfLds_sp_op_CI_CI_unitstride_sbrr_dirReg
; %bb.0:
	s_clause 0x2
	s_load_b128 s[8:11], s[0:1], 0x0
	s_load_b128 s[4:7], s[0:1], 0x58
	;; [unrolled: 1-line block ×3, first 2 shown]
	v_mul_u32_u24_e32 v1, 0x20d, v0
	v_mov_b32_e32 v5, 0
	v_mov_b32_e32 v9, 0
	;; [unrolled: 1-line block ×3, first 2 shown]
	s_delay_alu instid0(VALU_DEP_4) | instskip(NEXT) | instid1(VALU_DEP_1)
	v_lshrrev_b32_e32 v1, 16, v1
	v_dual_mov_b32 v8, v5 :: v_dual_add_nc_u32 v7, ttmp9, v1
	s_wait_kmcnt 0x0
	v_cmp_lt_u64_e64 s2, s[10:11], 2
	s_delay_alu instid0(VALU_DEP_1)
	s_and_b32 vcc_lo, exec_lo, s2
	s_cbranch_vccnz .LBB0_8
; %bb.1:
	s_load_b64 s[2:3], s[0:1], 0x10
	v_mov_b32_e32 v9, 0
	v_mov_b32_e32 v10, 0
	s_delay_alu instid0(VALU_DEP_2)
	v_mov_b32_e32 v1, v9
	s_add_nc_u64 s[16:17], s[14:15], 8
	s_add_nc_u64 s[18:19], s[12:13], 8
	s_mov_b64 s[20:21], 1
	v_mov_b32_e32 v2, v10
	s_wait_kmcnt 0x0
	s_add_nc_u64 s[22:23], s[2:3], 8
	s_mov_b32 s3, 0
.LBB0_2:                                ; =>This Inner Loop Header: Depth=1
	s_load_b64 s[24:25], s[22:23], 0x0
                                        ; implicit-def: $vgpr3_vgpr4
	s_mov_b32 s2, exec_lo
	s_wait_kmcnt 0x0
	v_or_b32_e32 v6, s25, v8
	s_delay_alu instid0(VALU_DEP_1)
	v_cmpx_ne_u64_e32 0, v[5:6]
	s_wait_alu 0xfffe
	s_xor_b32 s26, exec_lo, s2
	s_cbranch_execz .LBB0_4
; %bb.3:                                ;   in Loop: Header=BB0_2 Depth=1
	s_cvt_f32_u32 s2, s24
	s_cvt_f32_u32 s27, s25
	s_sub_nc_u64 s[30:31], 0, s[24:25]
	s_wait_alu 0xfffe
	s_delay_alu instid0(SALU_CYCLE_1) | instskip(SKIP_1) | instid1(SALU_CYCLE_2)
	s_fmamk_f32 s2, s27, 0x4f800000, s2
	s_wait_alu 0xfffe
	v_s_rcp_f32 s2, s2
	s_delay_alu instid0(TRANS32_DEP_1) | instskip(SKIP_1) | instid1(SALU_CYCLE_2)
	s_mul_f32 s2, s2, 0x5f7ffffc
	s_wait_alu 0xfffe
	s_mul_f32 s27, s2, 0x2f800000
	s_wait_alu 0xfffe
	s_delay_alu instid0(SALU_CYCLE_2) | instskip(SKIP_1) | instid1(SALU_CYCLE_2)
	s_trunc_f32 s27, s27
	s_wait_alu 0xfffe
	s_fmamk_f32 s2, s27, 0xcf800000, s2
	s_cvt_u32_f32 s29, s27
	s_wait_alu 0xfffe
	s_delay_alu instid0(SALU_CYCLE_1) | instskip(SKIP_1) | instid1(SALU_CYCLE_2)
	s_cvt_u32_f32 s28, s2
	s_wait_alu 0xfffe
	s_mul_u64 s[34:35], s[30:31], s[28:29]
	s_wait_alu 0xfffe
	s_mul_hi_u32 s37, s28, s35
	s_mul_i32 s36, s28, s35
	s_mul_hi_u32 s2, s28, s34
	s_mul_i32 s33, s29, s34
	s_wait_alu 0xfffe
	s_add_nc_u64 s[36:37], s[2:3], s[36:37]
	s_mul_hi_u32 s27, s29, s34
	s_mul_hi_u32 s38, s29, s35
	s_add_co_u32 s2, s36, s33
	s_wait_alu 0xfffe
	s_add_co_ci_u32 s2, s37, s27
	s_mul_i32 s34, s29, s35
	s_add_co_ci_u32 s35, s38, 0
	s_wait_alu 0xfffe
	s_add_nc_u64 s[34:35], s[2:3], s[34:35]
	s_wait_alu 0xfffe
	v_add_co_u32 v3, s2, s28, s34
	s_delay_alu instid0(VALU_DEP_1) | instskip(SKIP_1) | instid1(VALU_DEP_1)
	s_cmp_lg_u32 s2, 0
	s_add_co_ci_u32 s29, s29, s35
	v_readfirstlane_b32 s28, v3
	s_wait_alu 0xfffe
	s_delay_alu instid0(VALU_DEP_1)
	s_mul_u64 s[30:31], s[30:31], s[28:29]
	s_wait_alu 0xfffe
	s_mul_hi_u32 s35, s28, s31
	s_mul_i32 s34, s28, s31
	s_mul_hi_u32 s2, s28, s30
	s_mul_i32 s33, s29, s30
	s_wait_alu 0xfffe
	s_add_nc_u64 s[34:35], s[2:3], s[34:35]
	s_mul_hi_u32 s27, s29, s30
	s_mul_hi_u32 s28, s29, s31
	s_wait_alu 0xfffe
	s_add_co_u32 s2, s34, s33
	s_add_co_ci_u32 s2, s35, s27
	s_mul_i32 s30, s29, s31
	s_add_co_ci_u32 s31, s28, 0
	s_wait_alu 0xfffe
	s_add_nc_u64 s[30:31], s[2:3], s[30:31]
	s_wait_alu 0xfffe
	v_add_co_u32 v6, s2, v3, s30
	s_delay_alu instid0(VALU_DEP_1) | instskip(SKIP_1) | instid1(VALU_DEP_1)
	s_cmp_lg_u32 s2, 0
	s_add_co_ci_u32 s2, s29, s31
	v_mul_hi_u32 v15, v7, v6
	s_wait_alu 0xfffe
	v_mad_co_u64_u32 v[3:4], null, v7, s2, 0
	v_mad_co_u64_u32 v[11:12], null, v8, v6, 0
	;; [unrolled: 1-line block ×3, first 2 shown]
	s_delay_alu instid0(VALU_DEP_3) | instskip(SKIP_1) | instid1(VALU_DEP_4)
	v_add_co_u32 v3, vcc_lo, v15, v3
	s_wait_alu 0xfffd
	v_add_co_ci_u32_e32 v4, vcc_lo, 0, v4, vcc_lo
	s_delay_alu instid0(VALU_DEP_2) | instskip(SKIP_1) | instid1(VALU_DEP_2)
	v_add_co_u32 v3, vcc_lo, v3, v11
	s_wait_alu 0xfffd
	v_add_co_ci_u32_e32 v3, vcc_lo, v4, v12, vcc_lo
	s_wait_alu 0xfffd
	v_add_co_ci_u32_e32 v4, vcc_lo, 0, v14, vcc_lo
	s_delay_alu instid0(VALU_DEP_2) | instskip(SKIP_1) | instid1(VALU_DEP_2)
	v_add_co_u32 v6, vcc_lo, v3, v13
	s_wait_alu 0xfffd
	v_add_co_ci_u32_e32 v11, vcc_lo, 0, v4, vcc_lo
	s_delay_alu instid0(VALU_DEP_2) | instskip(SKIP_1) | instid1(VALU_DEP_3)
	v_mul_lo_u32 v12, s25, v6
	v_mad_co_u64_u32 v[3:4], null, s24, v6, 0
	v_mul_lo_u32 v13, s24, v11
	s_delay_alu instid0(VALU_DEP_2) | instskip(NEXT) | instid1(VALU_DEP_2)
	v_sub_co_u32 v3, vcc_lo, v7, v3
	v_add3_u32 v4, v4, v13, v12
	s_delay_alu instid0(VALU_DEP_1) | instskip(SKIP_1) | instid1(VALU_DEP_1)
	v_sub_nc_u32_e32 v12, v8, v4
	s_wait_alu 0xfffd
	v_subrev_co_ci_u32_e64 v12, s2, s25, v12, vcc_lo
	v_add_co_u32 v13, s2, v6, 2
	s_wait_alu 0xf1ff
	v_add_co_ci_u32_e64 v14, s2, 0, v11, s2
	v_sub_co_u32 v15, s2, v3, s24
	v_sub_co_ci_u32_e32 v4, vcc_lo, v8, v4, vcc_lo
	s_wait_alu 0xf1ff
	v_subrev_co_ci_u32_e64 v12, s2, 0, v12, s2
	s_delay_alu instid0(VALU_DEP_3) | instskip(NEXT) | instid1(VALU_DEP_3)
	v_cmp_le_u32_e32 vcc_lo, s24, v15
	v_cmp_eq_u32_e64 s2, s25, v4
	s_wait_alu 0xfffd
	v_cndmask_b32_e64 v15, 0, -1, vcc_lo
	v_cmp_le_u32_e32 vcc_lo, s25, v12
	s_wait_alu 0xfffd
	v_cndmask_b32_e64 v16, 0, -1, vcc_lo
	v_cmp_le_u32_e32 vcc_lo, s24, v3
	;; [unrolled: 3-line block ×3, first 2 shown]
	s_wait_alu 0xfffd
	v_cndmask_b32_e64 v17, 0, -1, vcc_lo
	v_cmp_eq_u32_e32 vcc_lo, s25, v12
	s_wait_alu 0xf1ff
	s_delay_alu instid0(VALU_DEP_2)
	v_cndmask_b32_e64 v3, v17, v3, s2
	s_wait_alu 0xfffd
	v_cndmask_b32_e32 v12, v16, v15, vcc_lo
	v_add_co_u32 v15, vcc_lo, v6, 1
	s_wait_alu 0xfffd
	v_add_co_ci_u32_e32 v16, vcc_lo, 0, v11, vcc_lo
	s_delay_alu instid0(VALU_DEP_3) | instskip(SKIP_2) | instid1(VALU_DEP_3)
	v_cmp_ne_u32_e32 vcc_lo, 0, v12
	s_wait_alu 0xfffd
	v_cndmask_b32_e32 v12, v15, v13, vcc_lo
	v_cndmask_b32_e32 v4, v16, v14, vcc_lo
	v_cmp_ne_u32_e32 vcc_lo, 0, v3
	s_wait_alu 0xfffd
	s_delay_alu instid0(VALU_DEP_3) | instskip(NEXT) | instid1(VALU_DEP_3)
	v_cndmask_b32_e32 v3, v6, v12, vcc_lo
	v_cndmask_b32_e32 v4, v11, v4, vcc_lo
.LBB0_4:                                ;   in Loop: Header=BB0_2 Depth=1
	s_wait_alu 0xfffe
	s_and_not1_saveexec_b32 s2, s26
	s_cbranch_execz .LBB0_6
; %bb.5:                                ;   in Loop: Header=BB0_2 Depth=1
	v_cvt_f32_u32_e32 v3, s24
	s_sub_co_i32 s26, 0, s24
	s_delay_alu instid0(VALU_DEP_1) | instskip(NEXT) | instid1(TRANS32_DEP_1)
	v_rcp_iflag_f32_e32 v3, v3
	v_mul_f32_e32 v3, 0x4f7ffffe, v3
	s_delay_alu instid0(VALU_DEP_1) | instskip(SKIP_1) | instid1(VALU_DEP_1)
	v_cvt_u32_f32_e32 v3, v3
	s_wait_alu 0xfffe
	v_mul_lo_u32 v4, s26, v3
	s_delay_alu instid0(VALU_DEP_1) | instskip(NEXT) | instid1(VALU_DEP_1)
	v_mul_hi_u32 v4, v3, v4
	v_add_nc_u32_e32 v3, v3, v4
	s_delay_alu instid0(VALU_DEP_1) | instskip(NEXT) | instid1(VALU_DEP_1)
	v_mul_hi_u32 v3, v7, v3
	v_mul_lo_u32 v4, v3, s24
	v_add_nc_u32_e32 v6, 1, v3
	s_delay_alu instid0(VALU_DEP_2) | instskip(NEXT) | instid1(VALU_DEP_1)
	v_sub_nc_u32_e32 v4, v7, v4
	v_subrev_nc_u32_e32 v11, s24, v4
	v_cmp_le_u32_e32 vcc_lo, s24, v4
	s_wait_alu 0xfffd
	s_delay_alu instid0(VALU_DEP_2) | instskip(NEXT) | instid1(VALU_DEP_1)
	v_dual_cndmask_b32 v4, v4, v11 :: v_dual_cndmask_b32 v3, v3, v6
	v_cmp_le_u32_e32 vcc_lo, s24, v4
	s_delay_alu instid0(VALU_DEP_2) | instskip(SKIP_1) | instid1(VALU_DEP_1)
	v_add_nc_u32_e32 v6, 1, v3
	s_wait_alu 0xfffd
	v_dual_mov_b32 v4, v5 :: v_dual_cndmask_b32 v3, v3, v6
.LBB0_6:                                ;   in Loop: Header=BB0_2 Depth=1
	s_wait_alu 0xfffe
	s_or_b32 exec_lo, exec_lo, s2
	s_delay_alu instid0(VALU_DEP_1) | instskip(NEXT) | instid1(VALU_DEP_2)
	v_mul_lo_u32 v6, v4, s24
	v_mul_lo_u32 v13, v3, s25
	s_load_b64 s[26:27], s[18:19], 0x0
	v_mad_co_u64_u32 v[11:12], null, v3, s24, 0
	s_load_b64 s[24:25], s[16:17], 0x0
	s_add_nc_u64 s[20:21], s[20:21], 1
	s_add_nc_u64 s[16:17], s[16:17], 8
	s_wait_alu 0xfffe
	v_cmp_ge_u64_e64 s2, s[20:21], s[10:11]
	s_add_nc_u64 s[18:19], s[18:19], 8
	s_add_nc_u64 s[22:23], s[22:23], 8
	v_add3_u32 v6, v12, v13, v6
	v_sub_co_u32 v7, vcc_lo, v7, v11
	s_wait_alu 0xfffd
	s_delay_alu instid0(VALU_DEP_2) | instskip(SKIP_2) | instid1(VALU_DEP_1)
	v_sub_co_ci_u32_e32 v6, vcc_lo, v8, v6, vcc_lo
	s_and_b32 vcc_lo, exec_lo, s2
	s_wait_kmcnt 0x0
	v_mul_lo_u32 v8, s26, v6
	v_mul_lo_u32 v11, s27, v7
	v_mad_co_u64_u32 v[9:10], null, s26, v7, v[9:10]
	v_mul_lo_u32 v6, s24, v6
	v_mul_lo_u32 v12, s25, v7
	v_mad_co_u64_u32 v[1:2], null, s24, v7, v[1:2]
	s_delay_alu instid0(VALU_DEP_4) | instskip(NEXT) | instid1(VALU_DEP_2)
	v_add3_u32 v10, v11, v10, v8
	v_add3_u32 v2, v12, v2, v6
	s_wait_alu 0xfffe
	s_cbranch_vccnz .LBB0_9
; %bb.7:                                ;   in Loop: Header=BB0_2 Depth=1
	v_dual_mov_b32 v8, v4 :: v_dual_mov_b32 v7, v3
	s_branch .LBB0_2
.LBB0_8:
	v_dual_mov_b32 v1, v9 :: v_dual_mov_b32 v2, v10
	v_dual_mov_b32 v3, v7 :: v_dual_mov_b32 v4, v8
.LBB0_9:
	s_load_b64 s[0:1], s[0:1], 0x28
	v_mul_hi_u32 v5, 0x20c49bb, v0
	s_lshl_b64 s[10:11], s[10:11], 3
                                        ; implicit-def: $vgpr56
	s_wait_kmcnt 0x0
	v_cmp_gt_u64_e32 vcc_lo, s[0:1], v[3:4]
	v_cmp_le_u64_e64 s0, s[0:1], v[3:4]
	s_delay_alu instid0(VALU_DEP_1)
	s_and_saveexec_b32 s1, s0
	s_wait_alu 0xfffe
	s_xor_b32 s0, exec_lo, s1
; %bb.10:
	v_mul_u32_u24_e32 v5, 0x7d, v5
                                        ; implicit-def: $vgpr9_vgpr10
	s_delay_alu instid0(VALU_DEP_1)
	v_sub_nc_u32_e32 v56, v0, v5
                                        ; implicit-def: $vgpr5
                                        ; implicit-def: $vgpr0
; %bb.11:
	s_wait_alu 0xfffe
	s_or_saveexec_b32 s1, s0
	s_add_nc_u64 s[2:3], s[14:15], s[10:11]
                                        ; implicit-def: $vgpr23
                                        ; implicit-def: $vgpr21
                                        ; implicit-def: $vgpr8
                                        ; implicit-def: $vgpr6
                                        ; implicit-def: $vgpr13
                                        ; implicit-def: $vgpr29
                                        ; implicit-def: $vgpr31
                                        ; implicit-def: $vgpr27
                                        ; implicit-def: $vgpr25
                                        ; implicit-def: $vgpr11
                                        ; implicit-def: $vgpr37
                                        ; implicit-def: $vgpr39
                                        ; implicit-def: $vgpr35
                                        ; implicit-def: $vgpr33
                                        ; implicit-def: $vgpr15
                                        ; implicit-def: $vgpr45
                                        ; implicit-def: $vgpr47
                                        ; implicit-def: $vgpr41
                                        ; implicit-def: $vgpr43
                                        ; implicit-def: $vgpr17
                                        ; implicit-def: $vgpr49
                                        ; implicit-def: $vgpr55
                                        ; implicit-def: $vgpr53
                                        ; implicit-def: $vgpr51
                                        ; implicit-def: $vgpr19
	s_wait_alu 0xfffe
	s_xor_b32 exec_lo, exec_lo, s1
	s_cbranch_execz .LBB0_13
; %bb.12:
	s_add_nc_u64 s[10:11], s[12:13], s[10:11]
	s_load_b64 s[10:11], s[10:11], 0x0
	s_wait_kmcnt 0x0
	v_mul_lo_u32 v8, s11, v3
	v_mul_lo_u32 v11, s10, v4
	v_mad_co_u64_u32 v[6:7], null, s10, v3, 0
	s_delay_alu instid0(VALU_DEP_1) | instskip(SKIP_1) | instid1(VALU_DEP_2)
	v_add3_u32 v7, v7, v11, v8
	v_mul_u32_u24_e32 v11, 0x7d, v5
	v_lshlrev_b64_e32 v[5:6], 3, v[6:7]
	v_lshlrev_b64_e32 v[7:8], 3, v[9:10]
	s_delay_alu instid0(VALU_DEP_3) | instskip(NEXT) | instid1(VALU_DEP_3)
	v_sub_nc_u32_e32 v56, v0, v11
	v_add_co_u32 v0, s0, s4, v5
	s_wait_alu 0xf1ff
	s_delay_alu instid0(VALU_DEP_4) | instskip(NEXT) | instid1(VALU_DEP_3)
	v_add_co_ci_u32_e64 v5, s0, s5, v6, s0
	v_lshlrev_b32_e32 v6, 3, v56
	s_delay_alu instid0(VALU_DEP_3) | instskip(SKIP_1) | instid1(VALU_DEP_3)
	v_add_co_u32 v0, s0, v0, v7
	s_wait_alu 0xf1ff
	v_add_co_ci_u32_e64 v5, s0, v5, v8, s0
	s_delay_alu instid0(VALU_DEP_2) | instskip(SKIP_1) | instid1(VALU_DEP_2)
	v_add_co_u32 v22, s0, v0, v6
	s_wait_alu 0xf1ff
	v_add_co_ci_u32_e64 v23, s0, 0, v5, s0
	s_clause 0x18
	global_load_b64 v[40:41], v[22:23], off offset:11000
	global_load_b64 v[42:43], v[22:23], off offset:6000
	;; [unrolled: 1-line block ×3, first 2 shown]
	global_load_b64 v[18:19], v[22:23], off
	global_load_b64 v[16:17], v[22:23], off offset:1000
	global_load_b64 v[14:15], v[22:23], off offset:2000
	global_load_b64 v[10:11], v[22:23], off offset:3000
	global_load_b64 v[24:25], v[22:23], off offset:8000
	global_load_b64 v[34:35], v[22:23], off offset:12000
	global_load_b64 v[26:27], v[22:23], off offset:13000
	global_load_b64 v[48:49], v[22:23], off offset:20000
	global_load_b64 v[44:45], v[22:23], off offset:21000
	global_load_b64 v[36:37], v[22:23], off offset:22000
	global_load_b64 v[28:29], v[22:23], off offset:23000
	global_load_b64 v[50:51], v[22:23], off offset:5000
	global_load_b64 v[12:13], v[22:23], off offset:4000
	global_load_b64 v[52:53], v[22:23], off offset:10000
	global_load_b64 v[5:6], v[22:23], off offset:9000
	global_load_b64 v[54:55], v[22:23], off offset:15000
	global_load_b64 v[7:8], v[22:23], off offset:14000
	global_load_b64 v[46:47], v[22:23], off offset:16000
	global_load_b64 v[38:39], v[22:23], off offset:17000
	global_load_b64 v[30:31], v[22:23], off offset:18000
	global_load_b64 v[20:21], v[22:23], off offset:19000
	global_load_b64 v[22:23], v[22:23], off offset:24000
.LBB0_13:
	s_or_b32 exec_lo, exec_lo, s1
	s_wait_loadcnt 0x6
	v_dual_add_f32 v0, v54, v52 :: v_dual_sub_f32 v57, v53, v55
	v_dual_add_f32 v9, v50, v18 :: v_dual_sub_f32 v60, v51, v49
	v_dual_sub_f32 v58, v50, v52 :: v_dual_sub_f32 v59, v48, v54
	s_delay_alu instid0(VALU_DEP_3) | instskip(SKIP_1) | instid1(VALU_DEP_4)
	v_fma_f32 v0, -0.5, v0, v18
	v_add_f32_e32 v61, v48, v50
	v_add_f32_e32 v62, v52, v9
	s_load_b64 s[2:3], s[2:3], 0x0
	s_delay_alu instid0(VALU_DEP_3) | instskip(SKIP_3) | instid1(VALU_DEP_4)
	v_dual_add_f32 v64, v59, v58 :: v_dual_fmamk_f32 v9, v60, 0x3f737871, v0
	v_dual_fmac_f32 v0, 0xbf737871, v60 :: v_dual_sub_f32 v63, v52, v50
	v_dual_fmac_f32 v18, -0.5, v61 :: v_dual_sub_f32 v61, v54, v48
	v_add_f32_e32 v59, v54, v62
	v_dual_fmac_f32 v9, 0x3f167918, v57 :: v_dual_add_f32 v62, v51, v19
	s_delay_alu instid0(VALU_DEP_3) | instskip(NEXT) | instid1(VALU_DEP_4)
	v_dual_fmamk_f32 v58, v57, 0xbf737871, v18 :: v_dual_add_f32 v65, v55, v53
	v_dual_add_f32 v61, v61, v63 :: v_dual_fmac_f32 v18, 0x3f737871, v57
	s_delay_alu instid0(VALU_DEP_3) | instskip(SKIP_1) | instid1(VALU_DEP_4)
	v_dual_fmac_f32 v9, 0x3e9e377a, v64 :: v_dual_add_f32 v62, v53, v62
	v_dual_add_f32 v59, v48, v59 :: v_dual_fmac_f32 v0, 0xbf167918, v57
	v_fmac_f32_e32 v58, 0x3f167918, v60
	v_fma_f32 v57, -0.5, v65, v19
	v_dual_sub_f32 v48, v50, v48 :: v_dual_sub_f32 v63, v52, v54
	v_fmac_f32_e32 v18, 0xbf167918, v60
	v_add_f32_e32 v60, v55, v62
	v_fmac_f32_e32 v58, 0x3e9e377a, v61
	s_delay_alu instid0(VALU_DEP_4)
	v_fmamk_f32 v50, v48, 0xbf737871, v57
	v_add_f32_e32 v62, v49, v51
	v_fmac_f32_e32 v0, 0x3e9e377a, v64
	v_dual_sub_f32 v64, v49, v55 :: v_dual_fmac_f32 v57, 0x3f737871, v48
	v_sub_f32_e32 v54, v51, v53
	v_add_f32_e32 v52, v49, v60
	v_sub_f32_e32 v51, v53, v51
	v_sub_f32_e32 v49, v55, v49
	s_wait_loadcnt 0x4
	v_dual_fmac_f32 v18, 0x3e9e377a, v61 :: v_dual_add_f32 v53, v46, v40
	v_fmac_f32_e32 v57, 0x3f167918, v63
	v_sub_f32_e32 v61, v43, v45
	v_add_f32_e32 v49, v49, v51
	v_add_f32_e32 v51, v42, v16
	v_fmac_f32_e32 v19, -0.5, v62
	v_add_f32_e32 v60, v64, v54
	v_fmac_f32_e32 v50, 0xbf167918, v63
	v_fma_f32 v55, -0.5, v53, v16
	s_delay_alu instid0(VALU_DEP_4) | instskip(SKIP_2) | instid1(VALU_DEP_3)
	v_dual_add_f32 v51, v40, v51 :: v_dual_fmamk_f32 v54, v63, 0x3f737871, v19
	v_dual_fmac_f32 v19, 0xbf737871, v63 :: v_dual_add_f32 v64, v44, v42
	v_sub_f32_e32 v53, v41, v47
	v_dual_sub_f32 v63, v44, v46 :: v_dual_fmac_f32 v54, 0xbf167918, v48
	s_delay_alu instid0(VALU_DEP_3)
	v_fmac_f32_e32 v19, 0x3f167918, v48
	v_fmac_f32_e32 v57, 0x3e9e377a, v60
	v_sub_f32_e32 v62, v42, v40
	v_add_f32_e32 v48, v46, v51
	v_fmac_f32_e32 v54, 0x3e9e377a, v49
	v_dual_fmac_f32 v19, 0x3e9e377a, v49 :: v_dual_fmac_f32 v50, 0x3e9e377a, v60
	s_delay_alu instid0(VALU_DEP_4) | instskip(SKIP_4) | instid1(VALU_DEP_3)
	v_dual_add_f32 v51, v63, v62 :: v_dual_fmamk_f32 v60, v61, 0x3f737871, v55
	v_sub_f32_e32 v63, v46, v44
	v_dual_fmac_f32 v55, 0xbf737871, v61 :: v_dual_fmac_f32 v16, -0.5, v64
	v_sub_f32_e32 v49, v40, v42
	v_dual_add_f32 v48, v44, v48 :: v_dual_add_f32 v65, v47, v41
	v_fmac_f32_e32 v55, 0xbf167918, v53
	v_add_f32_e32 v64, v43, v17
	s_delay_alu instid0(VALU_DEP_4) | instskip(SKIP_1) | instid1(VALU_DEP_4)
	v_dual_fmamk_f32 v62, v53, 0xbf737871, v16 :: v_dual_add_f32 v63, v63, v49
	v_fmac_f32_e32 v16, 0x3f737871, v53
	v_fmac_f32_e32 v55, 0x3e9e377a, v51
	s_delay_alu instid0(VALU_DEP_4) | instskip(NEXT) | instid1(VALU_DEP_4)
	v_dual_fmac_f32 v60, 0x3f167918, v53 :: v_dual_add_f32 v49, v41, v64
	v_fmac_f32_e32 v62, 0x3f167918, v61
	v_fma_f32 v53, -0.5, v65, v17
	v_sub_f32_e32 v42, v42, v44
	v_sub_f32_e32 v40, v40, v46
	v_add_f32_e32 v44, v47, v49
	v_fmac_f32_e32 v60, 0x3e9e377a, v51
	v_add_f32_e32 v51, v45, v43
	v_fmac_f32_e32 v62, 0x3e9e377a, v63
	s_delay_alu instid0(VALU_DEP_2) | instskip(SKIP_3) | instid1(VALU_DEP_3)
	v_dual_add_f32 v64, v36, v32 :: v_dual_fmac_f32 v17, -0.5, v51
	v_dual_fmamk_f32 v49, v42, 0xbf737871, v53 :: v_dual_sub_f32 v46, v43, v41
	v_fmac_f32_e32 v53, 0x3f737871, v42
	v_dual_sub_f32 v41, v41, v43 :: v_dual_fmac_f32 v16, 0xbf167918, v61
	v_fmac_f32_e32 v49, 0xbf167918, v40
	v_sub_f32_e32 v61, v45, v47
	v_sub_f32_e32 v43, v47, v45
	v_add_f32_e32 v51, v45, v44
	s_wait_loadcnt 0x3
	v_add_f32_e32 v45, v38, v34
	v_sub_f32_e32 v47, v32, v34
	v_dual_add_f32 v44, v61, v46 :: v_dual_fmamk_f32 v61, v40, 0x3f737871, v17
	v_add_f32_e32 v41, v43, v41
	v_add_f32_e32 v43, v32, v14
	v_fmac_f32_e32 v53, 0x3f167918, v40
	v_fmac_f32_e32 v17, 0xbf737871, v40
	;; [unrolled: 1-line block ×3, first 2 shown]
	v_dual_fmac_f32 v16, 0x3e9e377a, v63 :: v_dual_fmac_f32 v49, 0x3e9e377a, v44
	v_add_f32_e32 v40, v34, v43
	v_sub_f32_e32 v46, v33, v37
	v_fma_f32 v45, -0.5, v45, v14
	v_sub_f32_e32 v63, v36, v38
	v_dual_fmac_f32 v53, 0x3e9e377a, v44 :: v_dual_sub_f32 v44, v35, v39
	v_dual_fmac_f32 v61, 0x3e9e377a, v41 :: v_dual_fmac_f32 v14, -0.5, v64
	v_add_f32_e32 v40, v38, v40
	v_dual_add_f32 v64, v33, v15 :: v_dual_fmac_f32 v17, 0x3f167918, v42
	s_delay_alu instid0(VALU_DEP_1) | instskip(NEXT) | instid1(VALU_DEP_3)
	v_fmac_f32_e32 v17, 0x3e9e377a, v41
	v_add_f32_e32 v41, v36, v40
	v_sub_f32_e32 v40, v34, v32
	v_dual_add_f32 v42, v63, v47 :: v_dual_sub_f32 v63, v38, v36
	v_fmamk_f32 v43, v46, 0x3f737871, v45
	v_dual_fmac_f32 v45, 0xbf737871, v46 :: v_dual_sub_f32 v32, v32, v36
	v_add_f32_e32 v65, v39, v35
	v_dual_fmamk_f32 v47, v44, 0xbf737871, v14 :: v_dual_sub_f32 v34, v34, v38
	s_delay_alu instid0(VALU_DEP_3)
	v_fmac_f32_e32 v45, 0xbf167918, v44
	v_add_f32_e32 v40, v63, v40
	v_fmac_f32_e32 v43, 0x3f167918, v44
	v_fmac_f32_e32 v14, 0x3f737871, v44
	v_add_f32_e32 v44, v35, v64
	v_fma_f32 v63, -0.5, v65, v15
	s_delay_alu instid0(VALU_DEP_4) | instskip(NEXT) | instid1(VALU_DEP_4)
	v_dual_sub_f32 v38, v33, v35 :: v_dual_fmac_f32 v43, 0x3e9e377a, v42
	v_fmac_f32_e32 v14, 0xbf167918, v46
	s_delay_alu instid0(VALU_DEP_4) | instskip(NEXT) | instid1(VALU_DEP_4)
	v_dual_add_f32 v36, v39, v44 :: v_dual_fmac_f32 v47, 0x3f167918, v46
	v_fmamk_f32 v64, v32, 0xbf737871, v63
	v_dual_sub_f32 v44, v37, v39 :: v_dual_fmac_f32 v63, 0x3f737871, v32
	s_delay_alu instid0(VALU_DEP_3) | instskip(NEXT) | instid1(VALU_DEP_4)
	v_add_f32_e32 v36, v37, v36
	v_fmac_f32_e32 v47, 0x3e9e377a, v40
	s_delay_alu instid0(VALU_DEP_4) | instskip(NEXT) | instid1(VALU_DEP_4)
	v_fmac_f32_e32 v64, 0xbf167918, v34
	v_add_f32_e32 v38, v44, v38
	v_dual_fmac_f32 v45, 0x3e9e377a, v42 :: v_dual_fmac_f32 v14, 0x3e9e377a, v40
	v_add_f32_e32 v42, v37, v33
	s_delay_alu instid0(VALU_DEP_3)
	v_dual_sub_f32 v33, v35, v33 :: v_dual_fmac_f32 v64, 0x3e9e377a, v38
	v_sub_f32_e32 v35, v39, v37
	s_wait_loadcnt 0x2
	v_dual_add_f32 v37, v30, v26 :: v_dual_add_f32 v44, v28, v24
	v_sub_f32_e32 v40, v24, v26
	v_add_f32_e32 v46, v31, v27
	v_add_f32_e32 v33, v35, v33
	;; [unrolled: 1-line block ×3, first 2 shown]
	v_fmac_f32_e32 v15, -0.5, v42
	v_sub_f32_e32 v42, v28, v30
	v_fmac_f32_e32 v63, 0x3f167918, v34
	v_fma_f32 v37, -0.5, v37, v10
	s_delay_alu instid0(VALU_DEP_4) | instskip(SKIP_3) | instid1(VALU_DEP_4)
	v_dual_fmac_f32 v10, -0.5, v44 :: v_dual_fmamk_f32 v81, v34, 0x3f737871, v15
	v_dual_fmac_f32 v15, 0xbf737871, v34 :: v_dual_add_f32 v34, v26, v35
	v_add_f32_e32 v44, v25, v11
	v_fma_f32 v82, -0.5, v46, v11
	v_fmac_f32_e32 v81, 0xbf167918, v32
	s_delay_alu instid0(VALU_DEP_4) | instskip(SKIP_3) | instid1(VALU_DEP_4)
	v_dual_fmac_f32 v15, 0x3f167918, v32 :: v_dual_add_f32 v32, v30, v34
	v_dual_sub_f32 v39, v25, v29 :: v_dual_add_f32 v34, v42, v40
	v_dual_fmac_f32 v63, 0x3e9e377a, v38 :: v_dual_sub_f32 v42, v30, v28
	v_sub_f32_e32 v38, v27, v31
	v_add_f32_e32 v32, v28, v32
	s_delay_alu instid0(VALU_DEP_4)
	v_dual_sub_f32 v40, v26, v24 :: v_dual_fmamk_f32 v35, v39, 0x3f737871, v37
	v_fmac_f32_e32 v37, 0xbf737871, v39
	v_fmac_f32_e32 v81, 0x3e9e377a, v33
	v_dual_fmac_f32 v15, 0x3e9e377a, v33 :: v_dual_sub_f32 v24, v24, v28
	v_fmamk_f32 v33, v38, 0xbf737871, v10
	v_dual_add_f32 v40, v42, v40 :: v_dual_fmac_f32 v35, 0x3f167918, v38
	v_fmac_f32_e32 v10, 0x3f737871, v38
	v_dual_fmac_f32 v37, 0xbf167918, v38 :: v_dual_add_f32 v38, v27, v44
	v_sub_f32_e32 v26, v26, v30
	s_delay_alu instid0(VALU_DEP_4) | instskip(NEXT) | instid1(VALU_DEP_4)
	v_dual_fmac_f32 v35, 0x3e9e377a, v34 :: v_dual_sub_f32 v30, v25, v27
	v_fmac_f32_e32 v10, 0xbf167918, v39
	s_delay_alu instid0(VALU_DEP_4) | instskip(SKIP_3) | instid1(VALU_DEP_4)
	v_dual_fmac_f32 v37, 0x3e9e377a, v34 :: v_dual_add_f32 v34, v29, v25
	v_dual_add_f32 v28, v31, v38 :: v_dual_fmamk_f32 v83, v24, 0xbf737871, v82
	v_sub_f32_e32 v38, v29, v31
	v_fmac_f32_e32 v33, 0x3f167918, v39
	v_dual_fmac_f32 v11, -0.5, v34 :: v_dual_fmac_f32 v82, 0x3f737871, v24
	s_delay_alu instid0(VALU_DEP_4) | instskip(NEXT) | instid1(VALU_DEP_3)
	v_add_f32_e32 v28, v29, v28
	v_dual_add_f32 v30, v38, v30 :: v_dual_fmac_f32 v33, 0x3e9e377a, v40
	s_delay_alu instid0(VALU_DEP_3)
	v_dual_fmamk_f32 v84, v26, 0x3f737871, v11 :: v_dual_sub_f32 v25, v27, v25
	v_sub_f32_e32 v27, v31, v29
	v_fmac_f32_e32 v83, 0xbf167918, v26
	s_wait_loadcnt 0x1
	v_dual_fmac_f32 v82, 0x3f167918, v26 :: v_dual_add_f32 v29, v20, v7
	v_fmac_f32_e32 v84, 0xbf167918, v24
	v_fmac_f32_e32 v11, 0xbf737871, v26
	v_dual_fmac_f32 v83, 0x3e9e377a, v30 :: v_dual_add_f32 v26, v5, v12
	s_delay_alu instid0(VALU_DEP_4) | instskip(SKIP_3) | instid1(VALU_DEP_3)
	v_dual_add_f32 v25, v27, v25 :: v_dual_fmac_f32 v82, 0x3e9e377a, v30
	v_fma_f32 v27, -0.5, v29, v12
	s_wait_loadcnt 0x0
	v_dual_sub_f32 v29, v6, v23 :: v_dual_sub_f32 v30, v8, v21
	v_fmac_f32_e32 v84, 0x3e9e377a, v25
	v_dual_fmac_f32 v11, 0x3f167918, v24 :: v_dual_add_f32 v24, v7, v26
	v_dual_sub_f32 v31, v5, v7 :: v_dual_sub_f32 v34, v22, v20
	s_delay_alu instid0(VALU_DEP_4) | instskip(NEXT) | instid1(VALU_DEP_3)
	v_fmamk_f32 v26, v29, 0x3f737871, v27
	v_dual_fmac_f32 v27, 0xbf737871, v29 :: v_dual_add_f32 v24, v20, v24
	v_add_f32_e32 v38, v22, v5
	s_delay_alu instid0(VALU_DEP_3) | instskip(NEXT) | instid1(VALU_DEP_3)
	v_dual_add_f32 v31, v34, v31 :: v_dual_fmac_f32 v26, 0x3f167918, v30
	v_dual_fmac_f32 v27, 0xbf167918, v30 :: v_dual_add_f32 v24, v22, v24
	s_delay_alu instid0(VALU_DEP_3) | instskip(NEXT) | instid1(VALU_DEP_3)
	v_dual_fmac_f32 v12, -0.5, v38 :: v_dual_fmac_f32 v11, 0x3e9e377a, v25
	v_dual_fmac_f32 v26, 0x3e9e377a, v31 :: v_dual_sub_f32 v39, v20, v22
	s_delay_alu instid0(VALU_DEP_3) | instskip(SKIP_1) | instid1(VALU_DEP_4)
	v_fmac_f32_e32 v27, 0x3e9e377a, v31
	v_add_f32_e32 v31, v6, v13
	v_dual_fmamk_f32 v25, v30, 0xbf737871, v12 :: v_dual_add_f32 v34, v21, v8
	v_dual_sub_f32 v38, v7, v5 :: v_dual_sub_f32 v5, v5, v22
	v_dual_fmac_f32 v12, 0x3f737871, v30 :: v_dual_sub_f32 v7, v7, v20
	s_delay_alu instid0(VALU_DEP_3) | instskip(NEXT) | instid1(VALU_DEP_4)
	v_dual_add_f32 v30, v8, v31 :: v_dual_fmac_f32 v25, 0x3f167918, v29
	v_fma_f32 v31, -0.5, v34, v13
	s_delay_alu instid0(VALU_DEP_4) | instskip(NEXT) | instid1(VALU_DEP_3)
	v_add_f32_e32 v22, v39, v38
	v_dual_fmac_f32 v12, 0xbf167918, v29 :: v_dual_add_f32 v29, v21, v30
	v_add_f32_e32 v34, v23, v6
	s_delay_alu instid0(VALU_DEP_4) | instskip(SKIP_1) | instid1(VALU_DEP_4)
	v_fmamk_f32 v30, v5, 0xbf737871, v31
	v_fmac_f32_e32 v31, 0x3f737871, v5
	v_dual_fmac_f32 v25, 0x3e9e377a, v22 :: v_dual_add_f32 v20, v23, v29
	v_sub_f32_e32 v29, v23, v21
	s_delay_alu instid0(VALU_DEP_4) | instskip(NEXT) | instid1(VALU_DEP_4)
	v_dual_fmac_f32 v13, -0.5, v34 :: v_dual_fmac_f32 v30, 0xbf167918, v7
	v_fmac_f32_e32 v31, 0x3f167918, v7
	v_fmac_f32_e32 v12, 0x3e9e377a, v22
	s_delay_alu instid0(VALU_DEP_3) | instskip(SKIP_2) | instid1(VALU_DEP_3)
	v_dual_sub_f32 v22, v6, v8 :: v_dual_fmamk_f32 v85, v7, 0x3f737871, v13
	v_dual_sub_f32 v6, v8, v6 :: v_dual_fmac_f32 v13, 0xbf737871, v7
	v_sub_f32_e32 v8, v21, v23
	v_add_f32_e32 v21, v29, v22
	v_mad_u32_u24 v22, v56, 20, 0
	v_fmac_f32_e32 v85, 0xbf167918, v5
	s_delay_alu instid0(VALU_DEP_4)
	v_dual_fmac_f32 v13, 0x3f167918, v5 :: v_dual_add_f32 v6, v8, v6
	v_fmac_f32_e32 v10, 0x3e9e377a, v40
	v_add_nc_u32_e32 v40, 0x7d, v56
	v_add_nc_u32_e32 v23, 0x9cc, v22
	;; [unrolled: 1-line block ×3, first 2 shown]
	v_fmac_f32_e32 v13, 0x3e9e377a, v6
	v_add_nc_u32_e32 v86, 0x1390, v22
	v_add_nc_u32_e32 v87, 0x1d4c, v22
	ds_store_2addr_b32 v22, v59, v9 offset1:1
	ds_store_2addr_b32 v22, v58, v18 offset0:2 offset1:3
	ds_store_b32 v22, v0 offset:16
	ds_store_b32 v22, v55 offset:2516
	ds_store_2addr_b32 v23, v62, v16 offset1:1
	ds_store_2addr_b32 v29, v41, v43 offset1:1
	;; [unrolled: 1-line block ×4, first 2 shown]
	v_lshlrev_b32_e32 v0, 4, v56
	v_add_nc_u32_e32 v18, 0x1d54, v22
	v_add_nc_u32_e32 v32, 0x2710, v22
	v_dual_fmac_f32 v30, 0x3e9e377a, v21 :: v_dual_fmac_f32 v85, 0x3e9e377a, v6
	s_delay_alu instid0(VALU_DEP_4)
	v_sub_nc_u32_e32 v0, v22, v0
	v_fmac_f32_e32 v31, 0x3e9e377a, v21
	v_add_nc_u32_e32 v21, 0x9c4, v22
	v_add_nc_u32_e32 v55, 0x2718, v22
	ds_store_b32 v22, v45 offset:5016
	ds_store_b32 v22, v37 offset:7516
	ds_store_2addr_b32 v18, v33, v10 offset1:1
	ds_store_2addr_b32 v32, v24, v26 offset1:1
	;; [unrolled: 1-line block ×3, first 2 shown]
	v_add_nc_u32_e32 v47, 0x1a00, v0
	v_add_nc_u32_e32 v45, 0x600, v0
	ds_store_2addr_b32 v21, v48, v60 offset1:1
	ds_store_b32 v22, v27 offset:10016
	global_wb scope:SCOPE_SE
	s_wait_dscnt 0x0
	s_wait_kmcnt 0x0
	s_barrier_signal -1
	s_barrier_wait -1
	global_inv scope:SCOPE_SE
	ds_load_2addr_b32 v[7:8], v0 offset1:125
	ds_load_2addr_b32 v[5:6], v45 offset0:116 offset1:241
	v_add_nc_u32_e32 v48, 0x2600, v0
	ds_load_2addr_b32 v[65:66], v47 offset0:86 offset1:211
	v_add_nc_u32_e32 v46, 0x1200, v0
	v_add_nc_u32_e32 v39, 0xa00, v0
	v_add_nc_u32_e32 v37, 0x1e00, v0
	v_add_nc_u32_e32 v38, 0x200, v0
	v_add_nc_u32_e32 v41, 0x2a00, v0
	ds_load_2addr_b32 v[34:35], v46 offset0:98 offset1:223
	ds_load_2addr_b32 v[67:68], v48 offset0:68 offset1:193
	;; [unrolled: 1-line block ×4, first 2 shown]
	v_add_nc_u32_e32 v43, 0x1600, v0
	v_add_nc_u32_e32 v44, 0xe00, v0
	;; [unrolled: 1-line block ×3, first 2 shown]
	ds_load_2addr_b32 v[9:10], v38 offset0:122 offset1:247
	ds_load_2addr_b32 v[73:74], v43 offset0:92 offset1:217
	;; [unrolled: 1-line block ×5, first 2 shown]
	ds_load_b32 v89, v0 offset:12000
	global_wb scope:SCOPE_SE
	s_wait_dscnt 0x0
	s_barrier_signal -1
	s_barrier_wait -1
	global_inv scope:SCOPE_SE
	ds_store_2addr_b32 v22, v52, v50 offset1:1
	ds_store_2addr_b32 v22, v54, v19 offset0:2 offset1:3
	ds_store_b32 v22, v57 offset:16
	ds_store_b32 v22, v53 offset:2516
	ds_store_2addr_b32 v23, v61, v17 offset1:1
	ds_store_2addr_b32 v29, v36, v64 offset1:1
	;; [unrolled: 1-line block ×4, first 2 shown]
	ds_store_b32 v22, v63 offset:5016
	ds_store_b32 v22, v82 offset:7516
	v_and_b32_e32 v15, 0xff, v40
	ds_store_2addr_b32 v18, v84, v11 offset1:1
	ds_store_2addr_b32 v32, v20, v30 offset1:1
	;; [unrolled: 1-line block ×4, first 2 shown]
	ds_store_b32 v22, v31 offset:10016
	global_wb scope:SCOPE_SE
	s_wait_dscnt 0x0
	s_barrier_signal -1
	v_mul_lo_u16 v11, 0xcd, v15
	s_barrier_wait -1
	global_inv scope:SCOPE_SE
	v_add_nc_u32_e32 v49, 0xfa, v56
	v_lshrrev_b16 v17, 10, v11
	s_delay_alu instid0(VALU_DEP_2) | instskip(NEXT) | instid1(VALU_DEP_2)
	v_and_b32_e32 v21, 0xffff, v49
	v_mul_lo_u16 v11, v17, 5
	v_and_b32_e32 v17, 0xffff, v17
	s_delay_alu instid0(VALU_DEP_2) | instskip(NEXT) | instid1(VALU_DEP_2)
	v_sub_nc_u16 v11, v40, v11
	v_mul_u32_u24_e32 v17, 0x64, v17
	s_delay_alu instid0(VALU_DEP_2) | instskip(NEXT) | instid1(VALU_DEP_1)
	v_and_b32_e32 v23, 0xff, v11
	v_lshlrev_b32_e32 v11, 5, v23
	s_clause 0x1
	global_load_b128 v[52:55], v11, s[8:9]
	global_load_b128 v[57:60], v11, s[8:9] offset:16
	v_and_b32_e32 v14, 0xff, v56
	s_delay_alu instid0(VALU_DEP_1) | instskip(NEXT) | instid1(VALU_DEP_1)
	v_mul_lo_u16 v12, 0xcd, v14
	v_lshrrev_b16 v16, 10, v12
	s_delay_alu instid0(VALU_DEP_1) | instskip(SKIP_1) | instid1(VALU_DEP_2)
	v_mul_lo_u16 v12, v16, 5
	v_and_b32_e32 v16, 0xffff, v16
	v_sub_nc_u16 v12, v56, v12
	s_delay_alu instid0(VALU_DEP_2) | instskip(NEXT) | instid1(VALU_DEP_2)
	v_mul_u32_u24_e32 v16, 0x64, v16
	v_and_b32_e32 v18, 0xff, v12
	s_delay_alu instid0(VALU_DEP_1) | instskip(SKIP_4) | instid1(VALU_DEP_1)
	v_lshlrev_b32_e32 v12, 5, v18
	s_clause 0x1
	global_load_b128 v[26:29], v12, s[8:9]
	global_load_b128 v[30:33], v12, s[8:9] offset:16
	v_mul_u32_u24_e32 v12, 0xcccd, v21
	v_lshrrev_b32_e32 v19, 18, v12
	s_delay_alu instid0(VALU_DEP_1) | instskip(NEXT) | instid1(VALU_DEP_1)
	v_mul_lo_u16 v11, v19, 5
	v_sub_nc_u16 v11, v49, v11
	s_delay_alu instid0(VALU_DEP_1) | instskip(NEXT) | instid1(VALU_DEP_1)
	v_and_b32_e32 v25, 0xffff, v11
	v_lshlrev_b32_e32 v36, 5, v25
	global_load_b128 v[61:64], v36, s[8:9]
	ds_load_2addr_b32 v[11:12], v45 offset0:116 offset1:241
	ds_load_2addr_b32 v[81:82], v46 offset0:98 offset1:223
	;; [unrolled: 1-line block ×5, first 2 shown]
	s_wait_loadcnt 0x4
	v_mul_f32_e32 v97, v35, v55
	s_wait_dscnt 0x3
	s_delay_alu instid0(VALU_DEP_1)
	v_fmac_f32_e32 v97, v82, v54
	s_wait_loadcnt 0x2
	v_mul_f32_e32 v90, v6, v27
	v_dual_mul_f32 v22, v12, v27 :: v_dual_mul_f32 v91, v34, v29
	v_mul_f32_e32 v27, v81, v29
	s_wait_loadcnt 0x1
	v_mul_f32_e32 v94, v67, v33
	v_fmac_f32_e32 v90, v12, v26
	s_wait_dscnt 0x2
	v_mul_f32_e32 v12, v84, v31
	v_fma_f32 v92, v6, v26, -v22
	v_fmac_f32_e32 v91, v81, v28
	s_wait_dscnt 0x0
	v_dual_mul_f32 v81, v66, v31 :: v_dual_mul_f32 v22, v87, v53
	v_fma_f32 v96, v66, v30, -v12
	v_mul_f32_e32 v12, v82, v55
	s_delay_alu instid0(VALU_DEP_3) | instskip(SKIP_3) | instid1(VALU_DEP_4)
	v_dual_mul_f32 v82, v69, v53 :: v_dual_fmac_f32 v81, v84, v30
	v_fmac_f32_e32 v94, v85, v32
	v_mul_f32_e32 v26, v86, v60
	v_fma_f32 v93, v34, v28, -v27
	v_fmac_f32_e32 v82, v87, v52
	v_mul_f32_e32 v87, v68, v60
	v_fma_f32 v69, v69, v52, -v22
	v_fma_f32 v68, v68, v59, -v26
	v_lshlrev_b32_e32 v23, 2, v23
	s_delay_alu instid0(VALU_DEP_4) | instskip(SKIP_1) | instid1(VALU_DEP_3)
	v_dual_fmac_f32 v87, v86, v59 :: v_dual_mul_f32 v86, v71, v58
	v_mul_lo_u16 v14, v14, 41
	v_add3_u32 v23, 0, v17, v23
	v_mul_u32_u24_e32 v17, 0x64, v19
	s_wait_loadcnt 0x0
	v_mul_f32_e32 v99, v73, v64
	v_add_nc_u32_e32 v50, 0x177, v56
	v_mul_f32_e32 v34, v88, v62
	s_delay_alu instid0(VALU_DEP_2) | instskip(NEXT) | instid1(VALU_DEP_2)
	v_and_b32_e32 v20, 0xffff, v50
	v_fma_f32 v98, v70, v61, -v34
	v_mul_f32_e32 v70, v70, v62
	s_delay_alu instid0(VALU_DEP_3) | instskip(NEXT) | instid1(VALU_DEP_2)
	v_mul_u32_u24_e32 v13, 0xcccd, v20
	v_fmac_f32_e32 v70, v88, v61
	v_lshlrev_b32_e32 v25, 2, v25
	s_delay_alu instid0(VALU_DEP_3) | instskip(NEXT) | instid1(VALU_DEP_2)
	v_lshrrev_b32_e32 v24, 18, v13
	v_add3_u32 v19, 0, v17, v25
	s_delay_alu instid0(VALU_DEP_2) | instskip(NEXT) | instid1(VALU_DEP_1)
	v_mul_lo_u16 v13, v24, 5
	v_sub_nc_u16 v13, v50, v13
	s_delay_alu instid0(VALU_DEP_1) | instskip(SKIP_2) | instid1(VALU_DEP_2)
	v_and_b32_e32 v6, 0xffff, v13
	v_mul_f32_e32 v13, v85, v33
	v_fma_f32 v85, v35, v54, -v12
	v_fma_f32 v84, v67, v32, -v13
	ds_load_2addr_b32 v[32:33], v43 offset0:92 offset1:217
	v_lshlrev_b32_e32 v95, 5, v6
	ds_load_2addr_b32 v[12:13], v37 offset0:80 offset1:205
	v_sub_f32_e32 v54, v84, v96
	global_load_b128 v[28:31], v95, s[8:9]
	v_add_nc_u32_e32 v51, 0x1f4, v56
	s_delay_alu instid0(VALU_DEP_1) | instskip(NEXT) | instid1(VALU_DEP_1)
	v_and_b32_e32 v22, 0xffff, v51
	v_mul_u32_u24_e32 v26, 0xcccd, v22
	s_wait_dscnt 0x1
	v_fmac_f32_e32 v99, v32, v63
	s_delay_alu instid0(VALU_DEP_2)
	v_lshrrev_b32_e32 v26, 18, v26
	s_wait_dscnt 0x0
	v_mul_f32_e32 v27, v12, v58
	v_fmac_f32_e32 v86, v12, v57
	v_lshlrev_b32_e32 v18, 2, v18
	v_mul_lo_u16 v12, v26, 5
	s_delay_alu instid0(VALU_DEP_4) | instskip(NEXT) | instid1(VALU_DEP_3)
	v_fma_f32 v71, v71, v57, -v27
	v_add3_u32 v16, 0, v16, v18
	s_delay_alu instid0(VALU_DEP_3) | instskip(NEXT) | instid1(VALU_DEP_1)
	v_sub_nc_u16 v12, v51, v12
	v_and_b32_e32 v27, 0xffff, v12
	v_mul_f32_e32 v12, v32, v64
	s_delay_alu instid0(VALU_DEP_1) | instskip(SKIP_3) | instid1(VALU_DEP_2)
	v_fma_f32 v73, v73, v63, -v12
	s_wait_loadcnt 0x0
	v_mul_f32_e32 v12, v33, v31
	v_mul_f32_e32 v100, v77, v29
	v_fma_f32 v88, v74, v30, -v12
	v_mul_f32_e32 v74, v74, v31
	ds_load_2addr_b32 v[31:32], v44 offset0:104 offset1:229
	v_dual_fmac_f32 v74, v33, v30 :: v_dual_lshlrev_b32 v35, 5, v27
	s_wait_dscnt 0x0
	v_dual_mul_f32 v12, v31, v29 :: v_dual_lshlrev_b32 v27, 2, v27
	global_load_b128 v[57:60], v35, s[8:9]
	v_fmac_f32_e32 v100, v31, v28
	v_fma_f32 v77, v77, v28, -v12
	global_load_b128 v[28:31], v36, s[8:9] offset:16
	s_wait_loadcnt 0x1
	v_mul_f32_e32 v12, v32, v58
	v_dual_mul_f32 v34, v65, v60 :: v_dual_mul_f32 v33, v78, v58
	v_lshlrev_b32_e32 v6, 2, v6
	s_delay_alu instid0(VALU_DEP_3)
	v_fma_f32 v52, v78, v57, -v12
	v_mul_f32_e32 v12, v83, v60
	global_load_b128 v[60:63], v95, s[8:9] offset:16
	v_fmac_f32_e32 v33, v32, v57
	v_fma_f32 v53, v65, v59, -v12
	global_load_b128 v[64:67], v35, s[8:9] offset:16
	s_wait_loadcnt 0x2
	v_mul_f32_e32 v12, v13, v29
	ds_load_2addr_b32 v[35:36], v41 offset0:62 offset1:187
	v_fmac_f32_e32 v34, v83, v59
	v_mul_f32_e32 v83, v75, v31
	v_add_f32_e32 v32, v7, v92
	v_fma_f32 v78, v72, v28, -v12
	v_mul_f32_e32 v72, v72, v29
	v_sub_f32_e32 v59, v96, v84
	s_delay_alu instid0(VALU_DEP_2)
	v_fmac_f32_e32 v72, v13, v28
	ds_load_2addr_b32 v[28:29], v42 offset0:74 offset1:199
	s_wait_dscnt 0x1
	v_fmac_f32_e32 v83, v35, v30
	s_wait_loadcnt_dscnt 0x100
	v_mul_f32_e32 v13, v28, v61
	s_wait_loadcnt 0x0
	v_dual_mul_f32 v55, v80, v65 :: v_dual_mul_f32 v12, v35, v31
	v_mul_f32_e32 v57, v89, v67
	v_mul_f32_e32 v31, v29, v65
	v_sub_f32_e32 v65, v81, v94
	s_delay_alu instid0(VALU_DEP_4)
	v_fmac_f32_e32 v55, v29, v64
	v_fma_f32 v75, v75, v30, -v12
	ds_load_b32 v30, v0 offset:12000
	v_mul_f32_e32 v12, v36, v63
	v_mul_f32_e32 v63, v76, v63
	v_fma_f32 v58, v80, v64, -v31
	v_dual_add_f32 v31, v93, v96 :: v_dual_sub_f32 v64, v94, v81
	s_delay_alu instid0(VALU_DEP_3)
	v_fmac_f32_e32 v63, v36, v62
	s_wait_dscnt 0x0
	v_fmac_f32_e32 v57, v30, v66
	v_fma_f32 v95, v76, v62, -v12
	v_dual_mul_f32 v76, v79, v61 :: v_dual_mul_f32 v29, v30, v67
	v_fma_f32 v79, v79, v60, -v13
	ds_load_2addr_b32 v[12:13], v0 offset1:125
	v_dual_sub_f32 v61, v90, v91 :: v_dual_fmac_f32 v76, v28, v60
	v_add_f32_e32 v28, v32, v93
	v_fma_f32 v62, v89, v66, -v29
	v_sub_f32_e32 v29, v91, v81
	v_fma_f32 v32, -0.5, v31, v7
	s_delay_alu instid0(VALU_DEP_4) | instskip(SKIP_2) | instid1(VALU_DEP_3)
	v_dual_sub_f32 v31, v90, v94 :: v_dual_add_f32 v28, v28, v96
	v_sub_f32_e32 v60, v92, v84
	v_sub_f32_e32 v67, v68, v71
	v_dual_add_f32 v61, v61, v64 :: v_dual_fmamk_f32 v36, v31, 0x3f737871, v32
	s_delay_alu instid0(VALU_DEP_4) | instskip(SKIP_4) | instid1(VALU_DEP_4)
	v_add_f32_e32 v35, v28, v84
	v_add_f32_e32 v28, v92, v84
	v_fmac_f32_e32 v32, 0xbf737871, v31
	v_sub_f32_e32 v64, v91, v90
	v_sub_f32_e32 v66, v69, v85
	v_fma_f32 v7, -0.5, v28, v7
	v_sub_f32_e32 v28, v93, v92
	v_fmac_f32_e32 v36, 0x3f167918, v29
	s_delay_alu instid0(VALU_DEP_4) | instskip(NEXT) | instid1(VALU_DEP_3)
	v_dual_add_f32 v66, v66, v67 :: v_dual_add_f32 v67, v69, v68
	v_add_f32_e32 v59, v28, v59
	v_sub_f32_e32 v30, v92, v93
	s_wait_dscnt 0x0
	v_add_f32_e32 v28, v12, v90
	v_sub_f32_e32 v92, v79, v95
	s_delay_alu instid0(VALU_DEP_3) | instskip(SKIP_2) | instid1(VALU_DEP_2)
	v_add_f32_e32 v30, v30, v54
	v_fmamk_f32 v54, v29, 0xbf737871, v7
	v_fmac_f32_e32 v7, 0x3f737871, v29
	v_fmac_f32_e32 v54, 0x3f167918, v31
	s_delay_alu instid0(VALU_DEP_2) | instskip(SKIP_1) | instid1(VALU_DEP_3)
	v_fmac_f32_e32 v7, 0xbf167918, v31
	v_add_f32_e32 v31, v28, v91
	v_fmac_f32_e32 v54, 0x3e9e377a, v59
	s_delay_alu instid0(VALU_DEP_3) | instskip(SKIP_3) | instid1(VALU_DEP_2)
	v_fmac_f32_e32 v7, 0x3e9e377a, v59
	v_dual_sub_f32 v59, v93, v96 :: v_dual_fmac_f32 v32, 0xbf167918, v29
	v_add_f32_e32 v29, v91, v81
	v_add_f32_e32 v31, v31, v81
	v_fma_f32 v28, -0.5, v29, v12
	s_delay_alu instid0(VALU_DEP_1) | instskip(NEXT) | instid1(VALU_DEP_1)
	v_fmamk_f32 v29, v60, 0xbf737871, v28
	v_fmac_f32_e32 v29, 0xbf167918, v59
	v_fmac_f32_e32 v36, 0x3e9e377a, v30
	;; [unrolled: 1-line block ×3, first 2 shown]
	v_add_f32_e32 v30, v90, v94
	s_delay_alu instid0(VALU_DEP_4) | instskip(NEXT) | instid1(VALU_DEP_2)
	v_dual_sub_f32 v90, v74, v76 :: v_dual_fmac_f32 v29, 0x3e9e377a, v61
	v_fma_f32 v30, -0.5, v30, v12
	v_add_f32_e32 v12, v31, v94
	s_delay_alu instid0(VALU_DEP_2) | instskip(SKIP_2) | instid1(VALU_DEP_3)
	v_dual_sub_f32 v94, v58, v62 :: v_dual_fmamk_f32 v31, v59, 0x3f737871, v30
	v_fmac_f32_e32 v28, 0x3f737871, v60
	v_fmac_f32_e32 v30, 0xbf737871, v59
	;; [unrolled: 1-line block ×3, first 2 shown]
	s_delay_alu instid0(VALU_DEP_3) | instskip(NEXT) | instid1(VALU_DEP_1)
	v_dual_fmac_f32 v28, 0x3f167918, v59 :: v_dual_add_f32 v59, v8, v69
	v_add_f32_e32 v59, v59, v85
	s_delay_alu instid0(VALU_DEP_1) | instskip(NEXT) | instid1(VALU_DEP_1)
	v_dual_add_f32 v64, v64, v65 :: v_dual_add_f32 v59, v59, v71
	v_dual_fmac_f32 v28, 0x3e9e377a, v61 :: v_dual_fmac_f32 v31, 0x3e9e377a, v64
	v_add_f32_e32 v61, v85, v71
	s_delay_alu instid0(VALU_DEP_1)
	v_fma_f32 v65, -0.5, v61, v8
	v_sub_f32_e32 v61, v82, v87
	v_dual_fmac_f32 v8, -0.5, v67 :: v_dual_sub_f32 v67, v85, v69
	v_fmac_f32_e32 v30, 0x3f167918, v60
	v_sub_f32_e32 v60, v97, v86
	v_sub_f32_e32 v69, v69, v68
	s_delay_alu instid0(VALU_DEP_3) | instskip(SKIP_3) | instid1(VALU_DEP_2)
	v_fmac_f32_e32 v30, 0x3e9e377a, v64
	v_dual_add_f32 v64, v59, v68 :: v_dual_add_f32 v59, v13, v82
	v_fmamk_f32 v80, v61, 0x3f737871, v65
	v_dual_fmac_f32 v65, 0xbf737871, v61 :: v_dual_sub_f32 v68, v71, v68
	v_dual_add_f32 v81, v59, v97 :: v_dual_fmac_f32 v80, 0x3f167918, v60
	s_delay_alu instid0(VALU_DEP_2) | instskip(NEXT) | instid1(VALU_DEP_2)
	v_fmac_f32_e32 v65, 0xbf167918, v60
	v_fmac_f32_e32 v80, 0x3e9e377a, v66
	s_delay_alu instid0(VALU_DEP_2) | instskip(SKIP_3) | instid1(VALU_DEP_3)
	v_fmac_f32_e32 v65, 0x3e9e377a, v66
	v_fmamk_f32 v66, v60, 0xbf737871, v8
	v_fmac_f32_e32 v8, 0x3f737871, v60
	v_add_f32_e32 v60, v97, v86
	v_fmac_f32_e32 v66, 0x3f167918, v61
	s_delay_alu instid0(VALU_DEP_2) | instskip(SKIP_3) | instid1(VALU_DEP_3)
	v_fma_f32 v59, -0.5, v60, v13
	v_dual_add_f32 v60, v67, v68 :: v_dual_add_f32 v67, v82, v87
	v_sub_f32_e32 v68, v85, v71
	v_sub_f32_e32 v71, v86, v87
	v_fmac_f32_e32 v13, -0.5, v67
	v_dual_sub_f32 v67, v97, v82 :: v_dual_fmac_f32 v8, 0xbf167918, v61
	v_add_f32_e32 v61, v81, v86
	v_fmamk_f32 v81, v69, 0xbf737871, v59
	s_delay_alu instid0(VALU_DEP_4) | instskip(NEXT) | instid1(VALU_DEP_4)
	v_fmamk_f32 v85, v68, 0x3f737871, v13
	v_dual_add_f32 v67, v67, v71 :: v_dual_fmac_f32 v66, 0x3e9e377a, v60
	v_sub_f32_e32 v71, v70, v83
	v_fmac_f32_e32 v59, 0x3f737871, v69
	s_delay_alu instid0(VALU_DEP_4)
	v_fmac_f32_e32 v85, 0xbf167918, v69
	v_fmac_f32_e32 v8, 0x3e9e377a, v60
	v_add_f32_e32 v84, v61, v87
	v_dual_sub_f32 v60, v82, v97 :: v_dual_fmac_f32 v13, 0xbf737871, v68
	v_sub_f32_e32 v61, v87, v86
	v_fmac_f32_e32 v81, 0xbf167918, v68
	v_dual_fmac_f32 v59, 0x3f167918, v68 :: v_dual_sub_f32 v82, v98, v73
	s_delay_alu instid0(VALU_DEP_4) | instskip(NEXT) | instid1(VALU_DEP_4)
	v_dual_fmac_f32 v13, 0x3f167918, v69 :: v_dual_sub_f32 v86, v75, v78
	v_dual_add_f32 v60, v60, v61 :: v_dual_add_f32 v61, v73, v78
	v_fmac_f32_e32 v85, 0x3e9e377a, v67
	s_delay_alu instid0(VALU_DEP_3) | instskip(NEXT) | instid1(VALU_DEP_3)
	v_fmac_f32_e32 v13, 0x3e9e377a, v67
	v_fma_f32 v68, -0.5, v61, v9
	v_sub_f32_e32 v61, v99, v72
	s_delay_alu instid0(VALU_DEP_2) | instskip(SKIP_3) | instid1(VALU_DEP_4)
	v_fmamk_f32 v69, v71, 0x3f737871, v68
	v_fmac_f32_e32 v68, 0xbf737871, v71
	v_fmac_f32_e32 v81, 0x3e9e377a, v60
	v_dual_fmac_f32 v59, 0x3e9e377a, v60 :: v_dual_add_f32 v60, v98, v75
	v_fmac_f32_e32 v69, 0x3f167918, v61
	s_delay_alu instid0(VALU_DEP_4) | instskip(NEXT) | instid1(VALU_DEP_3)
	v_fmac_f32_e32 v68, 0xbf167918, v61
	v_fma_f32 v87, -0.5, v60, v9
	v_add_f32_e32 v60, v82, v86
	v_sub_f32_e32 v82, v73, v98
	v_add_f32_e32 v9, v9, v98
	s_delay_alu instid0(VALU_DEP_4) | instskip(SKIP_2) | instid1(VALU_DEP_4)
	v_fmamk_f32 v67, v61, 0xbf737871, v87
	v_fmac_f32_e32 v87, 0x3f737871, v61
	v_dual_sub_f32 v61, v78, v75 :: v_dual_fmac_f32 v68, 0x3e9e377a, v60
	v_add_f32_e32 v9, v9, v73
	s_delay_alu instid0(VALU_DEP_2) | instskip(SKIP_1) | instid1(VALU_DEP_3)
	v_dual_sub_f32 v73, v73, v78 :: v_dual_add_f32 v82, v82, v61
	v_fmac_f32_e32 v67, 0x3f167918, v71
	v_dual_add_f32 v9, v9, v78 :: v_dual_sub_f32 v78, v70, v99
	v_fmac_f32_e32 v87, 0xbf167918, v71
	s_delay_alu instid0(VALU_DEP_3) | instskip(NEXT) | instid1(VALU_DEP_2)
	v_fmac_f32_e32 v67, 0x3e9e377a, v82
	v_dual_fmac_f32 v87, 0x3e9e377a, v82 :: v_dual_sub_f32 v82, v83, v72
	v_fmac_f32_e32 v69, 0x3e9e377a, v60
	ds_load_2addr_b32 v[60:61], v38 offset0:122 offset1:247
	global_wb scope:SCOPE_SE
	s_wait_dscnt 0x0
	s_barrier_signal -1
	v_add_f32_e32 v78, v78, v82
	v_add_f32_e32 v82, v99, v72
	s_barrier_wait -1
	global_inv scope:SCOPE_SE
	ds_store_2addr_b32 v16, v35, v36 offset1:5
	ds_store_2addr_b32 v16, v54, v7 offset0:10 offset1:15
	ds_store_b32 v16, v32 offset:80
	ds_store_2addr_b32 v23, v64, v80 offset1:5
	v_mul_u32_u24_e32 v7, 0x64, v24
	ds_store_2addr_b32 v23, v66, v8 offset0:10 offset1:15
	v_mul_u32_u24_e32 v8, 0x64, v26
	ds_store_b32 v23, v65 offset:80
	v_add3_u32 v24, 0, v7, v6
	v_add3_u32 v25, 0, v8, v27
	v_fma_f32 v82, -0.5, v82, v60
	v_add_f32_e32 v71, v60, v70
	s_delay_alu instid0(VALU_DEP_1) | instskip(NEXT) | instid1(VALU_DEP_1)
	v_add_f32_e32 v71, v71, v99
	v_dual_add_f32 v71, v71, v72 :: v_dual_sub_f32 v72, v72, v83
	s_delay_alu instid0(VALU_DEP_1) | instskip(SKIP_1) | instid1(VALU_DEP_1)
	v_add_f32_e32 v86, v71, v83
	v_dual_sub_f32 v71, v99, v70 :: v_dual_add_f32 v70, v70, v83
	v_fma_f32 v60, -0.5, v70, v60
	s_delay_alu instid0(VALU_DEP_2)
	v_add_f32_e32 v70, v71, v72
	v_sub_f32_e32 v72, v95, v79
	v_add_f32_e32 v9, v9, v75
	v_sub_f32_e32 v75, v98, v75
	v_fmamk_f32 v89, v73, 0x3f737871, v60
	v_dual_fmac_f32 v60, 0xbf737871, v73 :: v_dual_sub_f32 v71, v77, v88
	s_delay_alu instid0(VALU_DEP_3) | instskip(SKIP_1) | instid1(VALU_DEP_1)
	v_fmamk_f32 v83, v75, 0xbf737871, v82
	v_fmac_f32_e32 v82, 0x3f737871, v75
	v_fmac_f32_e32 v82, 0x3f167918, v73
	ds_store_2addr_b32 v19, v9, v69 offset1:5
	ds_store_2addr_b32 v19, v67, v87 offset0:10 offset1:15
	v_fmac_f32_e32 v82, 0x3e9e377a, v78
	v_dual_fmac_f32 v60, 0x3f167918, v75 :: v_dual_add_f32 v71, v71, v72
	v_dual_add_f32 v72, v77, v95 :: v_dual_fmac_f32 v83, 0xbf167918, v73
	v_add_f32_e32 v73, v88, v79
	v_fmac_f32_e32 v89, 0xbf167918, v75
	s_delay_alu instid0(VALU_DEP_4) | instskip(NEXT) | instid1(VALU_DEP_3)
	v_dual_add_f32 v75, v10, v77 :: v_dual_fmac_f32 v60, 0x3e9e377a, v70
	v_fma_f32 v73, -0.5, v73, v10
	v_fmac_f32_e32 v10, -0.5, v72
	v_dual_sub_f32 v72, v100, v63 :: v_dual_fmac_f32 v83, 0x3e9e377a, v78
	s_delay_alu instid0(VALU_DEP_2) | instskip(NEXT) | instid1(VALU_DEP_2)
	v_fmamk_f32 v91, v90, 0xbf737871, v10
	v_fmamk_f32 v78, v72, 0x3f737871, v73
	v_fmac_f32_e32 v73, 0xbf737871, v72
	v_fmac_f32_e32 v10, 0x3f737871, v90
	s_delay_alu instid0(VALU_DEP_3) | instskip(NEXT) | instid1(VALU_DEP_3)
	v_fmac_f32_e32 v78, 0x3f167918, v90
	v_dual_fmac_f32 v73, 0xbf167918, v90 :: v_dual_sub_f32 v90, v88, v77
	v_dual_fmac_f32 v89, 0x3e9e377a, v70 :: v_dual_add_f32 v70, v75, v88
	s_delay_alu instid0(VALU_DEP_3) | instskip(SKIP_1) | instid1(VALU_DEP_4)
	v_fmac_f32_e32 v78, 0x3e9e377a, v71
	v_fmac_f32_e32 v10, 0xbf167918, v72
	v_dual_add_f32 v90, v90, v92 :: v_dual_fmac_f32 v73, 0x3e9e377a, v71
	s_delay_alu instid0(VALU_DEP_4) | instskip(SKIP_2) | instid1(VALU_DEP_3)
	v_dual_add_f32 v70, v70, v79 :: v_dual_fmac_f32 v91, 0x3f167918, v72
	v_sub_f32_e32 v71, v77, v95
	v_sub_f32_e32 v75, v100, v74
	v_dual_sub_f32 v77, v63, v76 :: v_dual_add_f32 v70, v70, v95
	s_delay_alu instid0(VALU_DEP_4) | instskip(NEXT) | instid1(VALU_DEP_2)
	v_dual_fmac_f32 v91, 0x3e9e377a, v90 :: v_dual_sub_f32 v72, v88, v79
	v_dual_add_f32 v88, v61, v100 :: v_dual_add_f32 v75, v75, v77
	v_dual_add_f32 v77, v74, v76 :: v_dual_fmac_f32 v10, 0x3e9e377a, v90
	s_delay_alu instid0(VALU_DEP_1) | instskip(NEXT) | instid1(VALU_DEP_1)
	v_fma_f32 v79, -0.5, v77, v61
	v_dual_fmamk_f32 v90, v71, 0xbf737871, v79 :: v_dual_add_f32 v77, v100, v63
	v_fmac_f32_e32 v79, 0x3f737871, v71
	s_delay_alu instid0(VALU_DEP_2) | instskip(SKIP_1) | instid1(VALU_DEP_1)
	v_dual_fmac_f32 v90, 0xbf167918, v72 :: v_dual_fmac_f32 v61, -0.5, v77
	v_dual_add_f32 v77, v88, v74 :: v_dual_sub_f32 v74, v74, v100
	v_dual_fmac_f32 v90, 0x3e9e377a, v75 :: v_dual_add_f32 v77, v77, v76
	s_delay_alu instid0(VALU_DEP_1) | instskip(NEXT) | instid1(VALU_DEP_4)
	v_add_f32_e32 v88, v77, v63
	v_fmamk_f32 v92, v72, 0x3f737871, v61
	v_sub_f32_e32 v63, v76, v63
	v_fmac_f32_e32 v61, 0xbf737871, v72
	v_sub_f32_e32 v77, v34, v55
	s_delay_alu instid0(VALU_DEP_4) | instskip(NEXT) | instid1(VALU_DEP_4)
	v_fmac_f32_e32 v92, 0xbf167918, v71
	v_add_f32_e32 v63, v74, v63
	v_dual_sub_f32 v74, v62, v58 :: v_dual_fmac_f32 v79, 0x3f167918, v72
	v_dual_sub_f32 v72, v52, v53 :: v_dual_fmac_f32 v61, 0x3f167918, v71
	v_add_f32_e32 v71, v53, v58
	s_delay_alu instid0(VALU_DEP_2) | instskip(SKIP_1) | instid1(VALU_DEP_3)
	v_dual_add_f32 v72, v72, v74 :: v_dual_fmac_f32 v79, 0x3e9e377a, v75
	v_add_f32_e32 v74, v52, v62
	v_fma_f32 v71, -0.5, v71, v5
	v_add_f32_e32 v75, v5, v52
	s_delay_alu instid0(VALU_DEP_3) | instskip(SKIP_1) | instid1(VALU_DEP_2)
	v_dual_fmac_f32 v5, -0.5, v74 :: v_dual_sub_f32 v74, v33, v57
	v_fmac_f32_e32 v92, 0x3e9e377a, v63
	v_fmamk_f32 v76, v74, 0x3f737871, v71
	v_fmac_f32_e32 v71, 0xbf737871, v74
	s_delay_alu instid0(VALU_DEP_2) | instskip(NEXT) | instid1(VALU_DEP_2)
	v_fmac_f32_e32 v76, 0x3f167918, v77
	v_fmac_f32_e32 v71, 0xbf167918, v77
	s_delay_alu instid0(VALU_DEP_2)
	v_dual_fmac_f32 v61, 0x3e9e377a, v63 :: v_dual_fmac_f32 v76, 0x3e9e377a, v72
	v_fmamk_f32 v93, v77, 0xbf737871, v5
	v_fmac_f32_e32 v5, 0x3f737871, v77
	v_dual_sub_f32 v77, v53, v52 :: v_dual_sub_f32 v52, v52, v62
	v_add_f32_e32 v63, v75, v53
	v_sub_f32_e32 v53, v53, v58
	s_delay_alu instid0(VALU_DEP_2) | instskip(SKIP_1) | instid1(VALU_DEP_2)
	v_add_f32_e32 v63, v63, v58
	v_dual_sub_f32 v58, v33, v34 :: v_dual_fmac_f32 v71, 0x3e9e377a, v72
	v_dual_add_f32 v72, v33, v57 :: v_dual_add_f32 v63, v63, v62
	v_sub_f32_e32 v62, v57, v55
	s_delay_alu instid0(VALU_DEP_1) | instskip(SKIP_3) | instid1(VALU_DEP_3)
	v_add_f32_e32 v58, v58, v62
	v_dual_fmac_f32 v93, 0x3f167918, v74 :: v_dual_add_f32 v62, v34, v55
	v_dual_fmac_f32 v5, 0xbf167918, v74 :: v_dual_add_f32 v74, v11, v33
	v_sub_f32_e32 v33, v34, v33
	v_fma_f32 v62, -0.5, v62, v11
	s_delay_alu instid0(VALU_DEP_3) | instskip(SKIP_1) | instid1(VALU_DEP_2)
	v_dual_fmac_f32 v11, -0.5, v72 :: v_dual_add_f32 v72, v74, v34
	v_add_f32_e32 v77, v77, v94
	v_fmamk_f32 v94, v53, 0x3f737871, v11
	s_delay_alu instid0(VALU_DEP_3) | instskip(NEXT) | instid1(VALU_DEP_3)
	v_dual_add_f32 v34, v72, v55 :: v_dual_sub_f32 v55, v55, v57
	v_fmac_f32_e32 v93, 0x3e9e377a, v77
	s_delay_alu instid0(VALU_DEP_3) | instskip(NEXT) | instid1(VALU_DEP_3)
	v_fmac_f32_e32 v94, 0xbf167918, v52
	v_dual_add_f32 v34, v34, v57 :: v_dual_fmamk_f32 v57, v52, 0xbf737871, v62
	s_delay_alu instid0(VALU_DEP_4) | instskip(NEXT) | instid1(VALU_DEP_2)
	v_dual_fmac_f32 v62, 0x3f737871, v52 :: v_dual_add_f32 v33, v33, v55
	v_fmac_f32_e32 v57, 0xbf167918, v53
	s_delay_alu instid0(VALU_DEP_2) | instskip(SKIP_1) | instid1(VALU_DEP_4)
	v_fmac_f32_e32 v62, 0x3f167918, v53
	v_fmac_f32_e32 v5, 0x3e9e377a, v77
	;; [unrolled: 1-line block ×4, first 2 shown]
	s_delay_alu instid0(VALU_DEP_4)
	v_fmac_f32_e32 v62, 0x3e9e377a, v58
	ds_store_b32 v19, v68 offset:80
	ds_store_2addr_b32 v24, v70, v78 offset1:5
	ds_store_2addr_b32 v24, v91, v10 offset0:10 offset1:15
	ds_store_b32 v24, v73 offset:80
	ds_store_2addr_b32 v25, v63, v76 offset1:5
	ds_store_2addr_b32 v25, v93, v5 offset0:10 offset1:15
	ds_store_b32 v25, v71 offset:80
	global_wb scope:SCOPE_SE
	s_wait_dscnt 0x0
	s_barrier_signal -1
	s_barrier_wait -1
	global_inv scope:SCOPE_SE
	ds_load_2addr_b32 v[9:10], v0 offset1:125
	ds_load_2addr_b32 v[5:6], v45 offset0:116 offset1:241
	ds_load_2addr_b32 v[17:18], v46 offset0:98 offset1:223
	ds_load_2addr_b32 v[65:66], v47 offset0:86 offset1:211
	ds_load_2addr_b32 v[35:36], v48 offset0:68 offset1:193
	ds_load_2addr_b32 v[67:68], v39 offset0:110 offset1:235
	ds_load_2addr_b32 v[69:70], v37 offset0:80 offset1:205
	ds_load_2addr_b32 v[7:8], v38 offset0:122 offset1:247
	ds_load_2addr_b32 v[71:72], v43 offset0:92 offset1:217
	ds_load_2addr_b32 v[73:74], v41 offset0:62 offset1:187
	ds_load_2addr_b32 v[75:76], v44 offset0:104 offset1:229
	ds_load_2addr_b32 v[77:78], v42 offset0:74 offset1:199
	ds_load_b32 v87, v0 offset:12000
	global_wb scope:SCOPE_SE
	s_wait_dscnt 0x0
	s_barrier_signal -1
	s_barrier_wait -1
	global_inv scope:SCOPE_SE
	ds_store_2addr_b32 v16, v12, v29 offset1:5
	v_lshrrev_b16 v12, 10, v14
	ds_store_2addr_b32 v16, v31, v30 offset0:10 offset1:15
	ds_store_b32 v16, v28 offset:80
	ds_store_2addr_b32 v23, v84, v81 offset1:5
	ds_store_2addr_b32 v23, v85, v13 offset0:10 offset1:15
	v_fmac_f32_e32 v11, 0x3f167918, v52
	v_mul_lo_u16 v14, v15, 41
	v_fmac_f32_e32 v57, 0x3e9e377a, v58
	v_mul_lo_u16 v13, v12, 25
	ds_store_b32 v23, v59 offset:80
	ds_store_2addr_b32 v19, v86, v83 offset1:5
	ds_store_2addr_b32 v19, v89, v60 offset0:10 offset1:15
	ds_store_b32 v19, v82 offset:80
	v_fmac_f32_e32 v11, 0x3e9e377a, v33
	ds_store_2addr_b32 v24, v88, v90 offset1:5
	ds_store_2addr_b32 v24, v92, v61 offset0:10 offset1:15
	ds_store_b32 v24, v79 offset:80
	ds_store_2addr_b32 v25, v34, v57 offset1:5
	ds_store_2addr_b32 v25, v94, v11 offset0:10 offset1:15
	ds_store_b32 v25, v62 offset:80
	v_sub_nc_u16 v13, v56, v13
	global_wb scope:SCOPE_SE
	s_wait_dscnt 0x0
	s_barrier_signal -1
	s_barrier_wait -1
	global_inv scope:SCOPE_SE
	v_and_b32_e32 v13, 0xff, v13
	v_lshrrev_b16 v11, 10, v14
	v_mul_u32_u24_e32 v16, 0x47af, v20
	v_mul_u32_u24_e32 v61, 0x47af, v22
	ds_load_2addr_b32 v[79:80], v46 offset0:98 offset1:223
	v_lshlrev_b32_e32 v15, 5, v13
	v_mul_lo_u16 v14, v11, 25
	ds_load_2addr_b32 v[81:82], v47 offset0:86 offset1:211
	ds_load_2addr_b32 v[83:84], v48 offset0:68 offset1:193
	v_and_b32_e32 v11, 0xffff, v11
	s_clause 0x1
	global_load_b128 v[27:30], v15, s[8:9] offset:160
	global_load_b128 v[31:34], v15, s[8:9] offset:176
	v_sub_nc_u16 v14, v40, v14
	v_mul_u32_u24_e32 v22, 0x625, v22
	v_mul_u32_u24_e32 v11, 0x1f4, v11
	v_and_b32_e32 v12, 0xffff, v12
	s_delay_alu instid0(VALU_DEP_4) | instskip(SKIP_2) | instid1(VALU_DEP_4)
	v_and_b32_e32 v24, 0xff, v14
	v_mul_u32_u24_e32 v14, 0x47af, v21
	v_lshrrev_b32_e32 v22, 16, v22
	v_mul_u32_u24_e32 v12, 0x1f4, v12
	s_delay_alu instid0(VALU_DEP_4) | instskip(NEXT) | instid1(VALU_DEP_4)
	v_lshlrev_b32_e32 v88, 5, v24
	v_lshrrev_b32_e32 v14, 16, v14
	global_load_b128 v[52:55], v88, s[8:9] offset:160
	v_sub_nc_u16 v15, v49, v14
	s_delay_alu instid0(VALU_DEP_1) | instskip(NEXT) | instid1(VALU_DEP_1)
	v_lshrrev_b16 v15, 1, v15
	v_add_nc_u16 v14, v15, v14
	v_lshrrev_b32_e32 v15, 16, v16
	s_delay_alu instid0(VALU_DEP_2) | instskip(NEXT) | instid1(VALU_DEP_2)
	v_lshrrev_b16 v23, 4, v14
	v_sub_nc_u16 v14, v50, v15
	s_delay_alu instid0(VALU_DEP_2) | instskip(NEXT) | instid1(VALU_DEP_2)
	v_mul_lo_u16 v16, v23, 25
	v_lshrrev_b16 v14, 1, v14
	s_delay_alu instid0(VALU_DEP_2) | instskip(NEXT) | instid1(VALU_DEP_2)
	v_sub_nc_u16 v16, v49, v16
	v_add_nc_u16 v14, v14, v15
	s_delay_alu instid0(VALU_DEP_1) | instskip(NEXT) | instid1(VALU_DEP_1)
	v_lshrrev_b16 v14, 4, v14
	v_mul_lo_u16 v15, v14, 25
	s_delay_alu instid0(VALU_DEP_1) | instskip(NEXT) | instid1(VALU_DEP_1)
	v_sub_nc_u16 v19, v50, v15
	v_and_b32_e32 v26, 0xffff, v19
	v_lshrrev_b32_e32 v19, 16, v61
	s_delay_alu instid0(VALU_DEP_1) | instskip(NEXT) | instid1(VALU_DEP_1)
	v_sub_nc_u16 v85, v51, v19
	v_lshrrev_b16 v91, 1, v85
	ds_load_2addr_b32 v[85:86], v39 offset0:110 offset1:235
	v_add_nc_u16 v19, v91, v19
	s_wait_loadcnt 0x2
	v_dual_mul_f32 v93, v6, v28 :: v_dual_lshlrev_b32 v90, 5, v26
	s_wait_loadcnt 0x1
	v_mul_f32_e32 v95, v35, v34
	global_load_b128 v[61:64], v90, s[8:9] offset:160
	v_and_b32_e32 v25, 0xffff, v16
	ds_load_2addr_b32 v[15:16], v45 offset0:116 offset1:241
	v_mul_f32_e32 v91, v17, v30
	s_wait_dscnt 0x2
	v_fmac_f32_e32 v95, v83, v33
	s_wait_dscnt 0x0
	s_delay_alu instid0(VALU_DEP_2) | instskip(SKIP_3) | instid1(VALU_DEP_4)
	v_dual_fmac_f32 v91, v79, v29 :: v_dual_mul_f32 v92, v16, v28
	v_dual_mul_f32 v28, v79, v30 :: v_dual_fmac_f32 v93, v16, v27
	v_mul_f32_e32 v16, v82, v32
	v_mul_f32_e32 v79, v66, v32
	v_fma_f32 v92, v6, v27, -v92
	s_delay_alu instid0(VALU_DEP_4)
	v_fma_f32 v94, v17, v29, -v28
	ds_load_2addr_b32 v[28:29], v43 offset0:92 offset1:217
	v_lshrrev_b16 v6, 4, v19
	v_fma_f32 v96, v66, v31, -v16
	v_mul_f32_e32 v19, v83, v34
	v_fmac_f32_e32 v79, v82, v31
	s_delay_alu instid0(VALU_DEP_4) | instskip(SKIP_1) | instid1(VALU_DEP_4)
	v_mul_lo_u16 v17, v6, 25
	v_and_b32_e32 v6, 0xffff, v6
	v_fma_f32 v82, v35, v33, -v19
	s_delay_alu instid0(VALU_DEP_3) | instskip(NEXT) | instid1(VALU_DEP_3)
	v_sub_nc_u16 v16, v51, v17
	v_mul_u32_u24_e32 v6, 0x1f4, v6
	s_delay_alu instid0(VALU_DEP_2) | instskip(SKIP_1) | instid1(VALU_DEP_1)
	v_and_b32_e32 v27, 0xffff, v16
	s_wait_loadcnt_dscnt 0x0
	v_dual_mul_f32 v32, v29, v64 :: v_dual_lshlrev_b32 v33, 5, v27
	v_lshlrev_b32_e32 v13, 2, v13
	s_delay_alu instid0(VALU_DEP_2) | instskip(SKIP_1) | instid1(VALU_DEP_1)
	v_fma_f32 v100, v72, v63, -v32
	v_mul_f32_e32 v72, v72, v64
	v_dual_fmac_f32 v72, v29, v63 :: v_dual_lshlrev_b32 v89, 5, v25
	global_load_b128 v[57:60], v89, s[8:9] offset:160
	v_dual_mul_f32 v17, v80, v55 :: v_dual_mul_f32 v16, v85, v53
	v_dual_mul_f32 v98, v18, v55 :: v_dual_mul_f32 v83, v67, v53
	s_delay_alu instid0(VALU_DEP_2) | instskip(NEXT) | instid1(VALU_DEP_3)
	v_fma_f32 v97, v18, v54, -v17
	v_fma_f32 v99, v67, v52, -v16
	global_load_b128 v[16:19], v33, s[8:9] offset:160
	v_dual_fmac_f32 v83, v85, v52 :: v_dual_fmac_f32 v98, v80, v54
	global_load_b128 v[52:55], v88, s[8:9] offset:176
	v_mul_f32_e32 v88, v75, v62
	s_wait_loadcnt 0x2
	v_mul_f32_e32 v30, v86, v58
	v_mul_f32_e32 v85, v68, v58
	s_delay_alu instid0(VALU_DEP_2) | instskip(NEXT) | instid1(VALU_DEP_2)
	v_fma_f32 v80, v68, v57, -v30
	v_dual_mul_f32 v30, v28, v60 :: v_dual_fmac_f32 v85, v86, v57
	v_mul_f32_e32 v86, v71, v60
	s_delay_alu instid0(VALU_DEP_2)
	v_fma_f32 v71, v71, v59, -v30
	ds_load_2addr_b32 v[30:31], v44 offset0:104 offset1:229
	v_fmac_f32_e32 v86, v28, v59
	s_wait_dscnt 0x0
	v_mul_f32_e32 v28, v30, v62
	global_load_b128 v[57:60], v89, s[8:9] offset:176
	v_fmac_f32_e32 v88, v30, v61
	s_wait_loadcnt 0x2
	v_mul_f32_e32 v30, v65, v19
	v_fma_f32 v75, v75, v61, -v28
	v_mul_f32_e32 v28, v31, v17
	global_load_b128 v[61:64], v90, s[8:9] offset:176
	v_fmac_f32_e32 v30, v81, v18
	v_fma_f32 v35, v76, v16, -v28
	v_dual_mul_f32 v28, v76, v17 :: v_dual_mul_f32 v17, v81, v19
	s_delay_alu instid0(VALU_DEP_1) | instskip(NEXT) | instid1(VALU_DEP_2)
	v_fmac_f32_e32 v28, v31, v16
	v_fma_f32 v32, v65, v18, -v17
	ds_load_2addr_b32 v[16:17], v37 offset0:80 offset1:205
	s_wait_loadcnt 0x2
	v_mul_f32_e32 v18, v84, v55
	ds_load_b32 v31, v0 offset:12000
	v_lshlrev_b32_e32 v27, 2, v27
	v_fma_f32 v76, v36, v54, -v18
	s_wait_dscnt 0x1
	v_mul_f32_e32 v18, v16, v53
	global_load_b128 v[65:68], v33, s[8:9] offset:176
	v_mul_f32_e32 v81, v36, v55
	ds_load_2addr_b32 v[33:34], v42 offset0:74 offset1:199
	v_dual_sub_f32 v36, v93, v95 :: v_dual_fmac_f32 v81, v84, v54
	v_mul_f32_e32 v84, v69, v53
	v_fma_f32 v69, v69, v52, -v18
	ds_load_2addr_b32 v[18:19], v41 offset0:62 offset1:187
	v_sub_f32_e32 v53, v82, v96
	v_fmac_f32_e32 v84, v16, v52
	v_sub_f32_e32 v52, v92, v94
	s_wait_loadcnt 0x2
	v_mul_f32_e32 v16, v17, v58
	s_delay_alu instid0(VALU_DEP_1) | instskip(SKIP_4) | instid1(VALU_DEP_3)
	v_fma_f32 v89, v70, v57, -v16
	s_wait_dscnt 0x0
	v_mul_f32_e32 v16, v18, v60
	v_mul_f32_e32 v60, v73, v60
	;; [unrolled: 1-line block ×3, first 2 shown]
	v_fma_f32 v73, v73, v59, -v16
	s_delay_alu instid0(VALU_DEP_3)
	v_fmac_f32_e32 v60, v18, v59
	s_wait_loadcnt 0x1
	v_dual_mul_f32 v59, v74, v64 :: v_dual_mul_f32 v18, v33, v62
	v_mul_f32_e32 v62, v77, v62
	v_fmac_f32_e32 v70, v17, v57
	v_mul_f32_e32 v16, v19, v64
	s_delay_alu instid0(VALU_DEP_3)
	v_dual_fmac_f32 v59, v19, v63 :: v_dual_fmac_f32 v62, v33, v61
	s_wait_loadcnt 0x0
	v_dual_mul_f32 v57, v78, v66 :: v_dual_mul_f32 v58, v87, v68
	v_mul_f32_e32 v29, v34, v66
	v_fma_f32 v64, v74, v63, -v16
	ds_load_2addr_b32 v[16:17], v0 offset1:125
	v_fmac_f32_e32 v57, v34, v65
	v_fma_f32 v63, v77, v61, -v18
	v_dual_add_f32 v33, v9, v92 :: v_dual_fmac_f32 v58, v31, v67
	v_add_f32_e32 v18, v94, v96
	v_fma_f32 v55, v78, v65, -v29
	v_mul_f32_e32 v19, v31, v68
	s_delay_alu instid0(VALU_DEP_4)
	v_add_f32_e32 v31, v33, v94
	v_add_f32_e32 v54, v92, v82
	v_fma_f32 v29, -0.5, v18, v9
	v_sub_f32_e32 v33, v91, v79
	v_sub_f32_e32 v65, v94, v92
	v_add_f32_e32 v31, v31, v96
	v_fma_f32 v9, -0.5, v54, v9
	v_fmamk_f32 v34, v36, 0x3f737871, v29
	v_add_f32_e32 v52, v52, v53
	v_dual_sub_f32 v66, v96, v82 :: v_dual_fmac_f32 v29, 0xbf737871, v36
	s_delay_alu instid0(VALU_DEP_3) | instskip(SKIP_2) | instid1(VALU_DEP_3)
	v_dual_add_f32 v53, v31, v82 :: v_dual_fmac_f32 v34, 0x3f167918, v33
	v_dual_fmamk_f32 v54, v33, 0xbf737871, v9 :: v_dual_add_f32 v31, v91, v79
	v_fma_f32 v61, v87, v67, -v19
	v_dual_add_f32 v65, v65, v66 :: v_dual_fmac_f32 v34, 0x3e9e377a, v52
	v_dual_fmac_f32 v29, 0xbf167918, v33 :: v_dual_sub_f32 v66, v92, v82
	s_wait_dscnt 0x0
	v_dual_fmac_f32 v54, 0x3f167918, v36 :: v_dual_add_f32 v67, v16, v93
	v_fma_f32 v31, -0.5, v31, v16
	v_fmac_f32_e32 v9, 0x3f737871, v33
	s_delay_alu instid0(VALU_DEP_3) | instskip(NEXT) | instid1(VALU_DEP_3)
	v_dual_fmac_f32 v29, 0x3e9e377a, v52 :: v_dual_fmac_f32 v54, 0x3e9e377a, v65
	v_dual_add_f32 v52, v67, v91 :: v_dual_fmamk_f32 v33, v66, 0xbf737871, v31
	v_dual_sub_f32 v68, v93, v91 :: v_dual_sub_f32 v67, v94, v96
	s_delay_alu instid0(VALU_DEP_4) | instskip(SKIP_1) | instid1(VALU_DEP_4)
	v_dual_sub_f32 v74, v95, v79 :: v_dual_fmac_f32 v9, 0xbf167918, v36
	v_add_f32_e32 v36, v93, v95
	v_dual_add_f32 v52, v52, v79 :: v_dual_fmac_f32 v31, 0x3f737871, v66
	s_delay_alu instid0(VALU_DEP_3) | instskip(NEXT) | instid1(VALU_DEP_3)
	v_dual_fmac_f32 v33, 0xbf167918, v67 :: v_dual_add_f32 v68, v68, v74
	v_fma_f32 v16, -0.5, v36, v16
	s_delay_alu instid0(VALU_DEP_3) | instskip(SKIP_1) | instid1(VALU_DEP_4)
	v_dual_fmac_f32 v9, 0x3e9e377a, v65 :: v_dual_add_f32 v36, v52, v95
	v_sub_f32_e32 v65, v91, v93
	v_dual_fmac_f32 v33, 0x3e9e377a, v68 :: v_dual_sub_f32 v74, v79, v95
	s_delay_alu instid0(VALU_DEP_4) | instskip(SKIP_3) | instid1(VALU_DEP_4)
	v_fmamk_f32 v52, v67, 0x3f737871, v16
	v_fmac_f32_e32 v16, 0xbf737871, v67
	v_fmac_f32_e32 v31, 0x3f167918, v67
	v_add_f32_e32 v67, v10, v99
	v_dual_add_f32 v77, v97, v69 :: v_dual_fmac_f32 v52, 0xbf167918, v66
	v_add_f32_e32 v65, v65, v74
	v_fmac_f32_e32 v16, 0x3f167918, v66
	s_delay_alu instid0(VALU_DEP_4) | instskip(NEXT) | instid1(VALU_DEP_4)
	v_add_f32_e32 v66, v67, v97
	v_fma_f32 v67, -0.5, v77, v10
	v_dual_sub_f32 v74, v83, v81 :: v_dual_fmac_f32 v31, 0x3e9e377a, v68
	v_dual_fmac_f32 v52, 0x3e9e377a, v65 :: v_dual_sub_f32 v77, v98, v84
	v_fmac_f32_e32 v16, 0x3e9e377a, v65
	v_dual_add_f32 v65, v66, v69 :: v_dual_add_f32 v68, v99, v76
	s_delay_alu instid0(VALU_DEP_4) | instskip(SKIP_1) | instid1(VALU_DEP_3)
	v_dual_fmamk_f32 v66, v74, 0x3f737871, v67 :: v_dual_sub_f32 v79, v76, v69
	v_dual_sub_f32 v78, v99, v97 :: v_dual_fmac_f32 v67, 0xbf737871, v74
	v_fmac_f32_e32 v10, -0.5, v68
	s_delay_alu instid0(VALU_DEP_3) | instskip(NEXT) | instid1(VALU_DEP_3)
	v_dual_fmac_f32 v66, 0x3f167918, v77 :: v_dual_add_f32 v65, v65, v76
	v_dual_add_f32 v68, v78, v79 :: v_dual_fmac_f32 v67, 0xbf167918, v77
	v_sub_f32_e32 v79, v97, v99
	s_delay_alu instid0(VALU_DEP_4) | instskip(SKIP_1) | instid1(VALU_DEP_4)
	v_fmamk_f32 v78, v77, 0xbf737871, v10
	v_dual_fmac_f32 v10, 0x3f737871, v77 :: v_dual_sub_f32 v77, v69, v76
	v_dual_fmac_f32 v66, 0x3e9e377a, v68 :: v_dual_sub_f32 v69, v97, v69
	v_fmac_f32_e32 v67, 0x3e9e377a, v68
	s_delay_alu instid0(VALU_DEP_3)
	v_dual_add_f32 v68, v98, v84 :: v_dual_add_f32 v77, v79, v77
	v_fmac_f32_e32 v78, 0x3f167918, v74
	ds_load_2addr_b32 v[18:19], v38 offset0:122 offset1:247
	v_lshlrev_b32_e32 v26, 2, v26
	v_fma_f32 v79, -0.5, v68, v17
	v_sub_f32_e32 v68, v99, v76
	v_dual_sub_f32 v76, v83, v98 :: v_dual_lshlrev_b32 v25, 2, v25
	global_wb scope:SCOPE_SE
	s_wait_dscnt 0x0
	s_barrier_signal -1
	v_fmamk_f32 v87, v68, 0xbf737871, v79
	v_fmac_f32_e32 v79, 0x3f737871, v68
	v_sub_f32_e32 v82, v81, v84
	v_fmac_f32_e32 v10, 0xbf167918, v74
	s_delay_alu instid0(VALU_DEP_4) | instskip(NEXT) | instid1(VALU_DEP_3)
	v_dual_add_f32 v74, v17, v83 :: v_dual_fmac_f32 v87, 0xbf167918, v69
	v_dual_fmac_f32 v79, 0x3f167918, v69 :: v_dual_add_f32 v76, v76, v82
	v_dual_add_f32 v82, v83, v81 :: v_dual_sub_f32 v83, v98, v83
	s_delay_alu instid0(VALU_DEP_4) | instskip(SKIP_3) | instid1(VALU_DEP_1)
	v_fmac_f32_e32 v10, 0x3e9e377a, v77
	s_barrier_wait -1
	global_inv scope:SCOPE_SE
	v_fmac_f32_e32 v17, -0.5, v82
	v_fmamk_f32 v82, v69, 0x3f737871, v17
	v_dual_fmac_f32 v17, 0xbf737871, v69 :: v_dual_add_f32 v74, v74, v98
	v_dual_fmac_f32 v87, 0x3e9e377a, v76 :: v_dual_fmac_f32 v78, 0x3e9e377a, v77
	v_fmac_f32_e32 v79, 0x3e9e377a, v76
	s_delay_alu instid0(VALU_DEP_3) | instskip(NEXT) | instid1(VALU_DEP_4)
	v_fmac_f32_e32 v17, 0x3f167918, v68
	v_add_f32_e32 v74, v74, v84
	s_delay_alu instid0(VALU_DEP_1) | instskip(SKIP_2) | instid1(VALU_DEP_1)
	v_dual_fmac_f32 v82, 0xbf167918, v68 :: v_dual_add_f32 v77, v74, v81
	v_add_f32_e32 v74, v71, v89
	v_sub_f32_e32 v81, v84, v81
	v_dual_add_f32 v76, v83, v81 :: v_dual_sub_f32 v81, v86, v70
	v_dual_sub_f32 v84, v85, v60 :: v_dual_sub_f32 v83, v80, v71
	s_delay_alu instid0(VALU_DEP_4) | instskip(NEXT) | instid1(VALU_DEP_3)
	v_fma_f32 v74, -0.5, v74, v7
	v_dual_sub_f32 v90, v73, v89 :: v_dual_fmac_f32 v17, 0x3e9e377a, v76
	v_fmac_f32_e32 v82, 0x3e9e377a, v76
	s_delay_alu instid0(VALU_DEP_3) | instskip(NEXT) | instid1(VALU_DEP_3)
	v_dual_add_f32 v76, v7, v80 :: v_dual_fmamk_f32 v69, v84, 0x3f737871, v74
	v_dual_add_f32 v68, v83, v90 :: v_dual_add_f32 v83, v80, v73
	v_sub_f32_e32 v90, v89, v73
	s_delay_alu instid0(VALU_DEP_3) | instskip(NEXT) | instid1(VALU_DEP_3)
	v_fmac_f32_e32 v69, 0x3f167918, v81
	v_fma_f32 v7, -0.5, v83, v7
	s_delay_alu instid0(VALU_DEP_1) | instskip(SKIP_1) | instid1(VALU_DEP_2)
	v_dual_fmac_f32 v74, 0xbf737871, v84 :: v_dual_fmamk_f32 v83, v81, 0xbf737871, v7
	v_fmac_f32_e32 v7, 0x3f737871, v81
	v_fmac_f32_e32 v74, 0xbf167918, v81
	v_add_f32_e32 v81, v18, v85
	v_fmac_f32_e32 v69, 0x3e9e377a, v68
	v_fmac_f32_e32 v83, 0x3f167918, v84
	v_dual_fmac_f32 v7, 0xbf167918, v84 :: v_dual_add_f32 v84, v86, v70
	s_delay_alu instid0(VALU_DEP_4) | instskip(NEXT) | instid1(VALU_DEP_2)
	v_dual_add_f32 v81, v81, v86 :: v_dual_fmac_f32 v74, 0x3e9e377a, v68
	v_fma_f32 v84, -0.5, v84, v18
	s_delay_alu instid0(VALU_DEP_2) | instskip(NEXT) | instid1(VALU_DEP_1)
	v_dual_add_f32 v81, v81, v70 :: v_dual_add_f32 v76, v76, v71
	v_add_f32_e32 v76, v76, v89
	s_delay_alu instid0(VALU_DEP_1) | instskip(SKIP_1) | instid1(VALU_DEP_4)
	v_add_f32_e32 v76, v76, v73
	v_dual_sub_f32 v73, v80, v73 :: v_dual_sub_f32 v68, v71, v80
	v_dual_add_f32 v80, v81, v60 :: v_dual_sub_f32 v71, v71, v89
	v_sub_f32_e32 v89, v85, v86
	s_delay_alu instid0(VALU_DEP_3) | instskip(SKIP_1) | instid1(VALU_DEP_2)
	v_dual_fmamk_f32 v81, v73, 0xbf737871, v84 :: v_dual_add_f32 v68, v68, v90
	v_fmac_f32_e32 v84, 0x3f737871, v73
	v_fmac_f32_e32 v81, 0xbf167918, v71
	s_delay_alu instid0(VALU_DEP_3) | instskip(SKIP_2) | instid1(VALU_DEP_1)
	v_fmac_f32_e32 v83, 0x3e9e377a, v68
	v_fmac_f32_e32 v7, 0x3e9e377a, v68
	v_add_f32_e32 v68, v85, v60
	v_fma_f32 v18, -0.5, v68, v18
	v_dual_sub_f32 v68, v86, v85 :: v_dual_sub_f32 v85, v60, v70
	v_sub_f32_e32 v60, v70, v60
	s_delay_alu instid0(VALU_DEP_3) | instskip(SKIP_1) | instid1(VALU_DEP_4)
	v_fmamk_f32 v86, v71, 0x3f737871, v18
	v_fmac_f32_e32 v18, 0xbf737871, v71
	v_dual_add_f32 v70, v89, v85 :: v_dual_add_f32 v85, v75, v64
	s_delay_alu instid0(VALU_DEP_3) | instskip(NEXT) | instid1(VALU_DEP_3)
	v_dual_sub_f32 v89, v63, v64 :: v_dual_fmac_f32 v86, 0xbf167918, v73
	v_fmac_f32_e32 v18, 0x3f167918, v73
	s_delay_alu instid0(VALU_DEP_3) | instskip(SKIP_3) | instid1(VALU_DEP_2)
	v_fmac_f32_e32 v81, 0x3e9e377a, v70
	v_sub_f32_e32 v73, v88, v59
	v_add_f32_e32 v60, v68, v60
	v_add_f32_e32 v68, v100, v63
	v_fmac_f32_e32 v86, 0x3e9e377a, v60
	s_delay_alu instid0(VALU_DEP_2) | instskip(SKIP_4) | instid1(VALU_DEP_1)
	v_fma_f32 v68, -0.5, v68, v8
	v_fmac_f32_e32 v18, 0x3e9e377a, v60
	v_add_f32_e32 v60, v8, v75
	v_dual_fmac_f32 v8, -0.5, v85 :: v_dual_sub_f32 v85, v72, v62
	v_fmac_f32_e32 v84, 0x3f167918, v71
	v_dual_sub_f32 v71, v64, v63 :: v_dual_fmac_f32 v84, 0x3e9e377a, v70
	v_sub_f32_e32 v70, v75, v100
	s_delay_alu instid0(VALU_DEP_1) | instskip(SKIP_1) | instid1(VALU_DEP_2)
	v_dual_add_f32 v70, v70, v71 :: v_dual_fmamk_f32 v71, v73, 0x3f737871, v68
	v_fmac_f32_e32 v68, 0xbf737871, v73
	v_fmac_f32_e32 v71, 0x3f167918, v85
	s_delay_alu instid0(VALU_DEP_2) | instskip(NEXT) | instid1(VALU_DEP_2)
	v_fmac_f32_e32 v68, 0xbf167918, v85
	v_fmac_f32_e32 v71, 0x3e9e377a, v70
	s_delay_alu instid0(VALU_DEP_2) | instskip(SKIP_2) | instid1(VALU_DEP_2)
	v_fmac_f32_e32 v68, 0x3e9e377a, v70
	v_fmamk_f32 v70, v85, 0xbf737871, v8
	v_dual_fmac_f32 v8, 0x3f737871, v85 :: v_dual_sub_f32 v85, v100, v75
	v_fmac_f32_e32 v70, 0x3f167918, v73
	s_delay_alu instid0(VALU_DEP_2) | instskip(NEXT) | instid1(VALU_DEP_3)
	v_dual_fmac_f32 v8, 0xbf167918, v73 :: v_dual_add_f32 v73, v19, v88
	v_add_f32_e32 v85, v85, v89
	s_delay_alu instid0(VALU_DEP_2) | instskip(SKIP_1) | instid1(VALU_DEP_3)
	v_add_f32_e32 v73, v73, v72
	v_add_f32_e32 v60, v60, v100
	v_fmac_f32_e32 v70, 0x3e9e377a, v85
	v_dual_fmac_f32 v8, 0x3e9e377a, v85 :: v_dual_add_f32 v85, v72, v62
	s_delay_alu instid0(VALU_DEP_3) | instskip(SKIP_1) | instid1(VALU_DEP_3)
	v_dual_add_f32 v73, v73, v62 :: v_dual_add_f32 v60, v60, v63
	v_sub_f32_e32 v63, v100, v63
	v_fma_f32 v85, -0.5, v85, v19
	s_delay_alu instid0(VALU_DEP_3) | instskip(SKIP_2) | instid1(VALU_DEP_2)
	v_dual_add_f32 v89, v73, v59 :: v_dual_add_f32 v60, v60, v64
	v_dual_sub_f32 v64, v75, v64 :: v_dual_add_f32 v75, v88, v59
	v_sub_f32_e32 v73, v88, v72
	v_dual_sub_f32 v72, v72, v88 :: v_dual_fmac_f32 v19, -0.5, v75
	v_sub_f32_e32 v75, v59, v62
	s_delay_alu instid0(VALU_DEP_2) | instskip(SKIP_1) | instid1(VALU_DEP_3)
	v_dual_sub_f32 v59, v62, v59 :: v_dual_fmamk_f32 v88, v63, 0x3f737871, v19
	v_fmac_f32_e32 v19, 0xbf737871, v63
	v_add_f32_e32 v62, v73, v75
	s_delay_alu instid0(VALU_DEP_3) | instskip(NEXT) | instid1(VALU_DEP_4)
	v_add_f32_e32 v59, v72, v59
	v_dual_add_f32 v73, v35, v61 :: v_dual_fmac_f32 v88, 0xbf167918, v64
	s_delay_alu instid0(VALU_DEP_4) | instskip(NEXT) | instid1(VALU_DEP_2)
	v_fmac_f32_e32 v19, 0x3f167918, v64
	v_dual_sub_f32 v75, v55, v61 :: v_dual_fmac_f32 v88, 0x3e9e377a, v59
	s_delay_alu instid0(VALU_DEP_2) | instskip(SKIP_2) | instid1(VALU_DEP_2)
	v_fmac_f32_e32 v19, 0x3e9e377a, v59
	v_dual_add_f32 v59, v5, v35 :: v_dual_fmamk_f32 v90, v64, 0xbf737871, v85
	v_dual_fmac_f32 v85, 0x3f737871, v64 :: v_dual_sub_f32 v64, v61, v55
	v_dual_add_f32 v59, v59, v32 :: v_dual_fmac_f32 v90, 0xbf167918, v63
	s_delay_alu instid0(VALU_DEP_2) | instskip(SKIP_1) | instid1(VALU_DEP_3)
	v_fmac_f32_e32 v85, 0x3f167918, v63
	v_add_f32_e32 v63, v32, v55
	v_dual_add_f32 v59, v59, v55 :: v_dual_fmac_f32 v90, 0x3e9e377a, v62
	s_delay_alu instid0(VALU_DEP_3) | instskip(NEXT) | instid1(VALU_DEP_3)
	v_fmac_f32_e32 v85, 0x3e9e377a, v62
	v_fma_f32 v62, -0.5, v63, v5
	v_sub_f32_e32 v63, v35, v32
	v_fmac_f32_e32 v5, -0.5, v73
	v_dual_sub_f32 v73, v30, v57 :: v_dual_sub_f32 v72, v28, v58
	v_dual_add_f32 v59, v59, v61 :: v_dual_lshlrev_b32 v24, 2, v24
	s_delay_alu instid0(VALU_DEP_2) | instskip(SKIP_1) | instid1(VALU_DEP_2)
	v_dual_add_f32 v63, v63, v64 :: v_dual_fmamk_f32 v64, v72, 0x3f737871, v62
	v_fmac_f32_e32 v62, 0xbf737871, v72
	v_fmac_f32_e32 v64, 0x3f167918, v73
	s_delay_alu instid0(VALU_DEP_2) | instskip(NEXT) | instid1(VALU_DEP_2)
	v_fmac_f32_e32 v62, 0xbf167918, v73
	v_fmac_f32_e32 v64, 0x3e9e377a, v63
	s_delay_alu instid0(VALU_DEP_2)
	v_fmac_f32_e32 v62, 0x3e9e377a, v63
	v_fmamk_f32 v63, v73, 0xbf737871, v5
	v_fmac_f32_e32 v5, 0x3f737871, v73
	v_sub_f32_e32 v73, v32, v35
	v_sub_f32_e32 v35, v35, v61
	v_add_f32_e32 v61, v28, v58
	v_fmac_f32_e32 v63, 0x3f167918, v72
	v_fmac_f32_e32 v5, 0xbf167918, v72
	v_dual_add_f32 v73, v73, v75 :: v_dual_add_f32 v72, v15, v28
	s_delay_alu instid0(VALU_DEP_1) | instskip(NEXT) | instid1(VALU_DEP_2)
	v_dual_sub_f32 v32, v32, v55 :: v_dual_fmac_f32 v5, 0x3e9e377a, v73
	v_dual_add_f32 v72, v72, v30 :: v_dual_fmac_f32 v63, 0x3e9e377a, v73
	v_add_f32_e32 v73, v30, v57
	s_delay_alu instid0(VALU_DEP_2) | instskip(NEXT) | instid1(VALU_DEP_2)
	v_add_f32_e32 v72, v72, v57
	v_fma_f32 v75, -0.5, v73, v15
	v_fmac_f32_e32 v15, -0.5, v61
	v_sub_f32_e32 v61, v28, v30
	s_delay_alu instid0(VALU_DEP_4) | instskip(SKIP_1) | instid1(VALU_DEP_4)
	v_dual_add_f32 v91, v72, v58 :: v_dual_sub_f32 v28, v30, v28
	v_dual_sub_f32 v30, v58, v57 :: v_dual_sub_f32 v57, v57, v58
	v_fmamk_f32 v92, v32, 0x3f737871, v15
	v_fmamk_f32 v55, v35, 0xbf737871, v75
	s_delay_alu instid0(VALU_DEP_3) | instskip(NEXT) | instid1(VALU_DEP_4)
	v_dual_fmac_f32 v75, 0x3f737871, v35 :: v_dual_add_f32 v30, v61, v30
	v_add_f32_e32 v28, v28, v57
	s_delay_alu instid0(VALU_DEP_4) | instskip(SKIP_2) | instid1(VALU_DEP_3)
	v_fmac_f32_e32 v92, 0xbf167918, v35
	v_fmac_f32_e32 v15, 0xbf737871, v32
	;; [unrolled: 1-line block ×4, first 2 shown]
	s_delay_alu instid0(VALU_DEP_3) | instskip(NEXT) | instid1(VALU_DEP_1)
	v_fmac_f32_e32 v15, 0x3f167918, v35
	v_fmac_f32_e32 v15, 0x3e9e377a, v28
	v_add3_u32 v28, 0, v12, v13
	v_and_b32_e32 v12, 0xffff, v23
	ds_store_2addr_b32 v28, v53, v34 offset1:25
	ds_store_2addr_b32 v28, v54, v9 offset0:50 offset1:75
	v_and_b32_e32 v9, 0xffff, v14
	v_add3_u32 v23, 0, v11, v24
	v_mul_u32_u24_e32 v11, 0x1f4, v12
	ds_store_b32 v28, v29 offset:400
	v_mul_u32_u24_e32 v9, 0x1f4, v9
	ds_store_2addr_b32 v23, v65, v66 offset1:25
	v_add3_u32 v24, 0, v11, v25
	ds_store_2addr_b32 v23, v78, v10 offset0:50 offset1:75
	ds_store_b32 v23, v67 offset:400
	v_add3_u32 v25, 0, v9, v26
	v_add3_u32 v26, 0, v6, v27
	ds_store_2addr_b32 v24, v76, v69 offset1:25
	ds_store_2addr_b32 v24, v83, v7 offset0:50 offset1:75
	ds_store_b32 v24, v74 offset:400
	ds_store_2addr_b32 v25, v60, v71 offset1:25
	ds_store_2addr_b32 v25, v70, v8 offset0:50 offset1:75
	ds_store_b32 v25, v68 offset:400
	;; [unrolled: 3-line block ×3, first 2 shown]
	v_dual_mov_b32 v6, 0 :: v_dual_lshlrev_b32 v5, 2, v56
	global_wb scope:SCOPE_SE
	s_wait_dscnt 0x0
	s_barrier_signal -1
	s_barrier_wait -1
	global_inv scope:SCOPE_SE
	v_lshlrev_b64_e32 v[7:8], 3, v[5:6]
	v_mul_u32_u24_e32 v5, 0x625, v21
	ds_load_2addr_b32 v[13:14], v0 offset1:125
	ds_load_2addr_b32 v[9:10], v45 offset0:116 offset1:241
	ds_load_2addr_b32 v[57:58], v46 offset0:98 offset1:223
	;; [unrolled: 1-line block ×11, first 2 shown]
	ds_load_b32 v93, v0 offset:12000
	v_fmac_f32_e32 v75, 0x3f167918, v32
	v_fmac_f32_e32 v55, 0x3e9e377a, v30
	global_wb scope:SCOPE_SE
	s_wait_dscnt 0x0
	v_add_co_u32 v7, s0, s8, v7
	s_wait_alu 0xf1ff
	v_add_co_ci_u32_e64 v8, s0, s9, v8, s0
	v_lshrrev_b32_e32 v5, 16, v5
	v_fmac_f32_e32 v75, 0x3e9e377a, v30
	s_barrier_signal -1
	s_barrier_wait -1
	global_inv scope:SCOPE_SE
	ds_store_2addr_b32 v28, v36, v33 offset1:25
	ds_store_2addr_b32 v28, v52, v16 offset0:50 offset1:75
	ds_store_b32 v28, v31 offset:400
	ds_store_2addr_b32 v23, v77, v87 offset1:25
	ds_store_2addr_b32 v23, v82, v17 offset0:50 offset1:75
	ds_store_b32 v23, v79 offset:400
	;; [unrolled: 3-line block ×5, first 2 shown]
	global_wb scope:SCOPE_SE
	s_wait_dscnt 0x0
	s_barrier_signal -1
	s_barrier_wait -1
	global_inv scope:SCOPE_SE
	s_clause 0x1
	global_load_b128 v[23:26], v[7:8], off offset:960
	global_load_b128 v[27:30], v[7:8], off offset:976
	v_sub_nc_u16 v15, v49, v5
	s_delay_alu instid0(VALU_DEP_1) | instskip(NEXT) | instid1(VALU_DEP_1)
	v_lshrrev_b16 v15, 1, v15
	v_add_nc_u16 v5, v15, v5
	s_delay_alu instid0(VALU_DEP_1) | instskip(NEXT) | instid1(VALU_DEP_1)
	v_lshrrev_b16 v5, 6, v5
	v_mul_lo_u16 v5, 0x7d, v5
	s_delay_alu instid0(VALU_DEP_1) | instskip(NEXT) | instid1(VALU_DEP_1)
	v_sub_nc_u16 v5, v49, v5
	v_and_b32_e32 v5, 0xffff, v5
	s_delay_alu instid0(VALU_DEP_1)
	v_lshlrev_b32_e32 v15, 5, v5
	s_clause 0x1
	global_load_b128 v[31:34], v15, s[8:9] offset:960
	global_load_b128 v[52:55], v15, s[8:9] offset:976
	v_mul_u32_u24_e32 v15, 0x625, v20
	ds_load_2addr_b32 v[35:36], v46 offset0:98 offset1:223
	ds_load_2addr_b32 v[75:76], v47 offset0:86 offset1:211
	v_lshrrev_b32_e32 v17, 16, v15
	s_delay_alu instid0(VALU_DEP_1) | instskip(NEXT) | instid1(VALU_DEP_1)
	v_sub_nc_u16 v15, v50, v17
	v_lshrrev_b16 v18, 1, v15
	ds_load_2addr_b32 v[15:16], v45 offset0:116 offset1:241
	ds_load_2addr_b32 v[77:78], v39 offset0:110 offset1:235
	ds_load_2addr_b32 v[79:80], v48 offset0:68 offset1:193
	ds_load_2addr_b32 v[81:82], v37 offset0:80 offset1:205
	ds_load_2addr_b32 v[83:84], v43 offset0:92 offset1:217
	ds_load_2addr_b32 v[85:86], v41 offset0:62 offset1:187
	v_add_nc_u16 v17, v18, v17
	s_delay_alu instid0(VALU_DEP_1) | instskip(NEXT) | instid1(VALU_DEP_1)
	v_lshrrev_b16 v17, 6, v17
	v_mul_lo_u16 v17, 0x7d, v17
	s_delay_alu instid0(VALU_DEP_1) | instskip(NEXT) | instid1(VALU_DEP_1)
	v_sub_nc_u16 v17, v50, v17
	v_and_b32_e32 v17, 0xffff, v17
	s_wait_loadcnt_dscnt 0x307
	v_mul_f32_e32 v89, v35, v26
	v_mul_f32_e32 v90, v57, v26
	s_wait_loadcnt 0x2
	v_dual_mul_f32 v91, v36, v26 :: v_dual_mul_f32 v94, v65, v28
	v_mul_f32_e32 v88, v10, v24
	v_fma_f32 v57, v57, v25, -v89
	v_dual_mul_f32 v89, v58, v26 :: v_dual_fmac_f32 v90, v35, v25
	s_delay_alu instid0(VALU_DEP_4)
	v_fma_f32 v58, v58, v25, -v91
	s_wait_dscnt 0x5
	v_mul_f32_e32 v18, v16, v24
	s_wait_dscnt 0x4
	v_dual_mul_f32 v26, v77, v24 :: v_dual_fmac_f32 v89, v36, v25
	v_sub_nc_u16 v25, v51, v22
	v_mul_f32_e32 v36, v63, v24
	v_fmac_f32_e32 v88, v16, v23
	v_mul_f32_e32 v16, v76, v28
	v_fma_f32 v87, v10, v23, -v18
	v_lshrrev_b16 v24, 1, v25
	v_fmac_f32_e32 v36, v77, v23
	v_fma_f32 v63, v63, v23, -v26
	v_fma_f32 v77, v60, v27, -v16
	v_mul_f32_e32 v60, v60, v28
	v_lshlrev_b32_e32 v10, 5, v17
	v_add_nc_u16 v16, v24, v22
	s_wait_dscnt 0x2
	v_dual_mul_f32 v23, v79, v30 :: v_dual_fmac_f32 v94, v81, v27
	v_mul_f32_e32 v22, v80, v30
	global_load_b128 v[18:21], v10, s[8:9] offset:960
	v_lshrrev_b16 v16, 6, v16
	v_fma_f32 v91, v61, v29, -v23
	v_mul_f32_e32 v23, v81, v28
	v_fma_f32 v92, v62, v29, -v22
	v_mul_f32_e32 v62, v62, v30
	v_mul_lo_u16 v16, 0x7d, v16
	v_mul_f32_e32 v61, v61, v30
	v_fma_f32 v65, v65, v27, -v23
	global_load_b128 v[22:25], v10, s[8:9] offset:976
	v_fmac_f32_e32 v62, v80, v29
	v_sub_nc_u16 v16, v51, v16
	v_dual_fmac_f32 v60, v76, v27 :: v_dual_fmac_f32 v61, v79, v29
	s_wait_loadcnt 0x3
	v_dual_mul_f32 v26, v78, v32 :: v_dual_mul_f32 v79, v67, v34
	s_wait_loadcnt 0x2
	v_dual_mul_f32 v27, v82, v53 :: v_dual_and_b32 v10, 0xffff, v16
	v_mul_f32_e32 v76, v64, v32
	s_delay_alu instid0(VALU_DEP_3) | instskip(SKIP_1) | instid1(VALU_DEP_3)
	v_fma_f32 v64, v64, v31, -v26
	s_wait_dscnt 0x1
	v_dual_fmac_f32 v79, v83, v33 :: v_dual_lshlrev_b32 v26, 5, v10
	v_mul_f32_e32 v16, v83, v34
	v_fmac_f32_e32 v76, v78, v31
	v_fma_f32 v78, v66, v52, -v27
	v_mul_f32_e32 v80, v69, v55
	global_load_b128 v[28:31], v26, s[8:9] offset:960
	v_fma_f32 v67, v67, v33, -v16
	global_load_b128 v[32:35], v26, s[8:9] offset:976
	ds_load_2addr_b32 v[26:27], v44 offset0:104 offset1:229
	s_wait_dscnt 0x1
	v_mul_f32_e32 v16, v85, v55
	v_mul_f32_e32 v66, v66, v53
	v_sub_f32_e32 v53, v90, v60
	v_add_f32_e32 v55, v87, v91
	v_lshl_add_u32 v5, v5, 2, 0
	v_fma_f32 v69, v69, v54, -v16
	v_fmac_f32_e32 v66, v82, v52
	ds_load_b32 v52, v0 offset:12000
	s_wait_loadcnt 0x3
	v_mul_f32_e32 v16, v84, v21
	v_mul_f32_e32 v82, v71, v19
	s_delay_alu instid0(VALU_DEP_2) | instskip(SKIP_4) | instid1(VALU_DEP_3)
	v_fma_f32 v81, v68, v20, -v16
	v_mul_f32_e32 v68, v68, v21
	s_wait_dscnt 0x1
	v_mul_f32_e32 v16, v26, v19
	v_fmac_f32_e32 v82, v26, v18
	v_fmac_f32_e32 v68, v84, v20
	ds_load_2addr_b32 v[19:20], v42 offset0:74 offset1:199
	v_fma_f32 v71, v71, v18, -v16
	s_wait_loadcnt 0x2
	v_mul_f32_e32 v16, v86, v25
	v_mul_f32_e32 v84, v73, v23
	s_delay_alu instid0(VALU_DEP_2) | instskip(SKIP_3) | instid1(VALU_DEP_2)
	v_fma_f32 v83, v70, v24, -v16
	s_wait_loadcnt 0x1
	v_mul_f32_e32 v21, v75, v31
	v_mul_f32_e32 v16, v27, v29
	v_fma_f32 v21, v59, v30, -v21
	s_wait_dscnt 0x0
	v_mul_f32_e32 v18, v19, v23
	v_fmac_f32_e32 v84, v19, v22
	v_mul_f32_e32 v19, v59, v31
	v_dual_sub_f32 v59, v87, v91 :: v_dual_mul_f32 v70, v70, v25
	s_delay_alu instid0(VALU_DEP_4)
	v_fma_f32 v73, v73, v22, -v18
	v_mul_f32_e32 v18, v72, v29
	v_fma_f32 v29, v72, v28, -v16
	v_sub_f32_e32 v72, v57, v77
	v_fmac_f32_e32 v70, v86, v24
	ds_load_2addr_b32 v[23:24], v0 offset1:125
	v_add_f32_e32 v16, v57, v77
	v_fmac_f32_e32 v18, v27, v28
	v_fmac_f32_e32 v19, v75, v30
	s_wait_loadcnt 0x0
	v_mul_f32_e32 v27, v20, v33
	v_mul_f32_e32 v22, v74, v33
	v_mul_f32_e32 v28, v52, v35
	v_add_f32_e32 v30, v13, v87
	v_fma_f32 v16, -0.5, v16, v13
	v_sub_f32_e32 v33, v88, v61
	v_fma_f32 v31, v74, v32, -v27
	v_fmac_f32_e32 v22, v20, v32
	v_fma_f32 v32, v93, v34, -v28
	v_dual_add_f32 v27, v30, v57 :: v_dual_fmac_f32 v80, v85, v54
	v_fmamk_f32 v20, v33, 0x3f737871, v16
	v_sub_f32_e32 v28, v87, v57
	v_sub_f32_e32 v54, v91, v77
	v_fmac_f32_e32 v16, 0xbf737871, v33
	v_mul_f32_e32 v30, v93, v35
	v_fmac_f32_e32 v20, 0x3f167918, v53
	v_fma_f32 v13, -0.5, v55, v13
	s_delay_alu instid0(VALU_DEP_4) | instskip(SKIP_3) | instid1(VALU_DEP_3)
	v_dual_add_f32 v35, v28, v54 :: v_dual_fmac_f32 v16, 0xbf167918, v53
	s_wait_dscnt 0x0
	v_add_f32_e32 v54, v23, v88
	v_dual_fmac_f32 v30, v52, v34 :: v_dual_add_f32 v75, v63, v92
	v_fmac_f32_e32 v20, 0x3e9e377a, v35
	v_dual_fmac_f32 v16, 0x3e9e377a, v35 :: v_dual_add_f32 v35, v88, v61
	v_fmamk_f32 v28, v53, 0xbf737871, v13
	v_fmac_f32_e32 v13, 0x3f737871, v53
	v_dual_add_f32 v53, v54, v90 :: v_dual_sub_f32 v52, v77, v91
	s_delay_alu instid0(VALU_DEP_4) | instskip(SKIP_4) | instid1(VALU_DEP_4)
	v_fma_f32 v54, -0.5, v35, v23
	v_add_f32_e32 v35, v58, v65
	v_dual_add_f32 v55, v90, v60 :: v_dual_fmac_f32 v28, 0x3f167918, v33
	v_fmac_f32_e32 v13, 0xbf167918, v33
	v_add_f32_e32 v33, v53, v60
	v_fma_f32 v35, -0.5, v35, v14
	v_dual_sub_f32 v34, v57, v87 :: v_dual_sub_f32 v57, v88, v90
	v_dual_sub_f32 v74, v61, v60 :: v_dual_add_f32 v27, v27, v77
	s_delay_alu instid0(VALU_DEP_2) | instskip(SKIP_1) | instid1(VALU_DEP_3)
	v_dual_add_f32 v77, v89, v94 :: v_dual_add_f32 v34, v34, v52
	v_fma_f32 v52, -0.5, v55, v23
	v_add_f32_e32 v23, v57, v74
	v_fmamk_f32 v57, v72, 0x3f737871, v54
	v_fmac_f32_e32 v54, 0xbf737871, v72
	s_delay_alu instid0(VALU_DEP_4) | instskip(SKIP_1) | instid1(VALU_DEP_4)
	v_dual_sub_f32 v74, v92, v65 :: v_dual_fmamk_f32 v53, v59, 0xbf737871, v52
	v_fmac_f32_e32 v52, 0x3f737871, v59
	v_fmac_f32_e32 v57, 0xbf167918, v59
	s_delay_alu instid0(VALU_DEP_4)
	v_fmac_f32_e32 v54, 0x3f167918, v59
	v_fmac_f32_e32 v13, 0x3e9e377a, v34
	;; [unrolled: 1-line block ×4, first 2 shown]
	v_dual_sub_f32 v72, v63, v58 :: v_dual_add_f32 v55, v33, v61
	v_sub_f32_e32 v33, v90, v88
	s_delay_alu instid0(VALU_DEP_4) | instskip(NEXT) | instid1(VALU_DEP_3)
	v_fmac_f32_e32 v53, 0x3e9e377a, v23
	v_dual_fmac_f32 v52, 0x3e9e377a, v23 :: v_dual_add_f32 v59, v72, v74
	v_sub_f32_e32 v72, v58, v63
	v_sub_f32_e32 v74, v65, v92
	v_fmac_f32_e32 v28, 0x3e9e377a, v34
	v_sub_f32_e32 v85, v69, v78
	ds_load_2addr_b32 v[25:26], v38 offset0:122 offset1:247
	v_add_f32_e32 v87, v79, v66
	v_add_f32_e32 v72, v72, v74
	v_dual_sub_f32 v34, v60, v61 :: v_dual_sub_f32 v61, v89, v94
	v_fma_f32 v74, -0.5, v77, v24
	v_sub_f32_e32 v77, v64, v67
	s_delay_alu instid0(VALU_DEP_3) | instskip(SKIP_3) | instid1(VALU_DEP_4)
	v_dual_add_f32 v86, v64, v69 :: v_dual_add_f32 v33, v33, v34
	v_add_f32_e32 v34, v14, v63
	v_dual_fmac_f32 v14, -0.5, v75 :: v_dual_add_f32 v75, v24, v36
	v_sub_f32_e32 v63, v63, v92
	v_fmac_f32_e32 v57, 0x3e9e377a, v33
	s_delay_alu instid0(VALU_DEP_4)
	v_add_f32_e32 v23, v34, v58
	v_sub_f32_e32 v58, v58, v65
	v_fmac_f32_e32 v54, 0x3e9e377a, v33
	v_fmamk_f32 v33, v61, 0xbf737871, v14
	v_fmac_f32_e32 v14, 0x3f737871, v61
	v_add_f32_e32 v23, v23, v65
	v_sub_f32_e32 v65, v36, v89
	v_dual_sub_f32 v60, v36, v62 :: v_dual_add_f32 v27, v27, v91
	global_wb scope:SCOPE_SE
	s_wait_dscnt 0x0
	v_add_f32_e32 v23, v23, v92
	s_barrier_signal -1
	v_fmamk_f32 v34, v60, 0x3f737871, v35
	v_fmac_f32_e32 v35, 0xbf737871, v60
	s_barrier_wait -1
	global_inv scope:SCOPE_SE
	v_fmac_f32_e32 v34, 0x3f167918, v61
	v_fmac_f32_e32 v35, 0xbf167918, v61
	v_add_f32_e32 v61, v75, v89
	s_delay_alu instid0(VALU_DEP_3) | instskip(NEXT) | instid1(VALU_DEP_3)
	v_dual_sub_f32 v75, v62, v94 :: v_dual_fmac_f32 v34, 0x3e9e377a, v59
	v_fmac_f32_e32 v35, 0x3e9e377a, v59
	s_delay_alu instid0(VALU_DEP_3)
	v_add_f32_e32 v59, v61, v94
	v_dual_add_f32 v61, v36, v62 :: v_dual_sub_f32 v36, v89, v36
	ds_store_2addr_b32 v0, v27, v20 offset1:125
	ds_store_2addr_b32 v38, v28, v13 offset0:122 offset1:247
	ds_store_2addr_b32 v45, v16, v23 offset0:116 offset1:241
	v_dual_add_f32 v59, v59, v62 :: v_dual_fmac_f32 v24, -0.5, v61
	v_add_f32_e32 v61, v65, v75
	v_fmac_f32_e32 v33, 0x3f167918, v60
	v_fmac_f32_e32 v14, 0xbf167918, v60
	v_fmamk_f32 v60, v63, 0xbf737871, v74
	v_fmamk_f32 v65, v58, 0x3f737871, v24
	v_fmac_f32_e32 v24, 0xbf737871, v58
	v_dual_fmac_f32 v74, 0x3f737871, v63 :: v_dual_sub_f32 v75, v76, v80
	s_delay_alu instid0(VALU_DEP_3) | instskip(NEXT) | instid1(VALU_DEP_3)
	v_dual_fmac_f32 v60, 0xbf167918, v58 :: v_dual_fmac_f32 v65, 0xbf167918, v63
	v_dual_fmac_f32 v24, 0x3f167918, v63 :: v_dual_add_f32 v63, v77, v85
	v_sub_f32_e32 v77, v67, v64
	v_sub_f32_e32 v85, v78, v69
	v_fmac_f32_e32 v33, 0x3e9e377a, v72
	s_delay_alu instid0(VALU_DEP_2) | instskip(SKIP_4) | instid1(VALU_DEP_4)
	v_dual_fmac_f32 v74, 0x3f167918, v58 :: v_dual_add_f32 v77, v77, v85
	v_sub_f32_e32 v62, v94, v62
	v_fma_f32 v85, -0.5, v87, v25
	v_fmac_f32_e32 v14, 0x3e9e377a, v72
	v_dual_add_f32 v72, v67, v78 :: v_dual_add_f32 v87, v68, v84
	v_add_f32_e32 v36, v36, v62
	v_add_f32_e32 v62, v11, v64
	v_sub_f32_e32 v64, v64, v69
	s_delay_alu instid0(VALU_DEP_4) | instskip(SKIP_1) | instid1(VALU_DEP_4)
	v_fma_f32 v72, -0.5, v72, v11
	v_fma_f32 v11, -0.5, v86, v11
	v_dual_fmac_f32 v65, 0x3e9e377a, v36 :: v_dual_add_f32 v58, v62, v67
	v_sub_f32_e32 v67, v67, v78
	v_sub_f32_e32 v62, v79, v66
	v_fmac_f32_e32 v24, 0x3e9e377a, v36
	ds_store_2addr_b32 v39, v34, v33 offset0:110 offset1:235
	v_add_f32_e32 v58, v58, v78
	v_sub_f32_e32 v78, v80, v66
	ds_store_2addr_b32 v44, v14, v35 offset0:104 offset1:229
	v_add_f32_e32 v36, v58, v69
	v_fmamk_f32 v58, v62, 0xbf737871, v11
	v_fmac_f32_e32 v11, 0x3f737871, v62
	v_dual_add_f32 v69, v76, v80 :: v_dual_fmac_f32 v60, 0x3e9e377a, v61
	s_delay_alu instid0(VALU_DEP_3) | instskip(NEXT) | instid1(VALU_DEP_3)
	v_fmac_f32_e32 v58, 0x3f167918, v75
	v_fmac_f32_e32 v11, 0xbf167918, v75
	s_delay_alu instid0(VALU_DEP_3) | instskip(NEXT) | instid1(VALU_DEP_3)
	v_fma_f32 v69, -0.5, v69, v25
	v_fmac_f32_e32 v58, 0x3e9e377a, v77
	s_delay_alu instid0(VALU_DEP_3)
	v_fmac_f32_e32 v11, 0x3e9e377a, v77
	v_add_f32_e32 v77, v81, v73
	v_fmac_f32_e32 v74, 0x3e9e377a, v61
	v_fmamk_f32 v61, v75, 0x3f737871, v72
	v_fmac_f32_e32 v72, 0xbf737871, v75
	v_sub_f32_e32 v75, v76, v79
	v_fma_f32 v77, -0.5, v77, v12
	s_delay_alu instid0(VALU_DEP_4) | instskip(NEXT) | instid1(VALU_DEP_4)
	v_dual_add_f32 v86, v25, v76 :: v_dual_fmac_f32 v61, 0x3f167918, v62
	v_fmac_f32_e32 v72, 0xbf167918, v62
	s_delay_alu instid0(VALU_DEP_4) | instskip(SKIP_1) | instid1(VALU_DEP_4)
	v_add_f32_e32 v25, v75, v78
	v_dual_sub_f32 v78, v82, v70 :: v_dual_fmamk_f32 v75, v67, 0x3f737871, v69
	v_fmac_f32_e32 v61, 0x3e9e377a, v63
	s_delay_alu instid0(VALU_DEP_4) | instskip(SKIP_3) | instid1(VALU_DEP_3)
	v_fmac_f32_e32 v72, 0x3e9e377a, v63
	v_fmamk_f32 v63, v64, 0xbf737871, v85
	v_fmac_f32_e32 v85, 0x3f737871, v64
	v_dual_fmac_f32 v69, 0xbf737871, v67 :: v_dual_sub_f32 v76, v79, v76
	v_fmac_f32_e32 v63, 0xbf167918, v67
	s_delay_alu instid0(VALU_DEP_3) | instskip(SKIP_2) | instid1(VALU_DEP_4)
	v_fmac_f32_e32 v85, 0x3f167918, v67
	v_fmamk_f32 v67, v78, 0x3f737871, v77
	v_dual_add_f32 v62, v86, v79 :: v_dual_fmac_f32 v77, 0xbf737871, v78
	v_fmac_f32_e32 v63, 0x3e9e377a, v25
	s_delay_alu instid0(VALU_DEP_4) | instskip(NEXT) | instid1(VALU_DEP_3)
	v_fmac_f32_e32 v85, 0x3e9e377a, v25
	v_dual_sub_f32 v79, v71, v81 :: v_dual_add_f32 v62, v62, v66
	v_sub_f32_e32 v66, v66, v80
	v_add_f32_e32 v86, v71, v83
	s_delay_alu instid0(VALU_DEP_3) | instskip(NEXT) | instid1(VALU_DEP_3)
	v_add_f32_e32 v62, v62, v80
	v_add_f32_e32 v66, v76, v66
	;; [unrolled: 1-line block ×3, first 2 shown]
	v_sub_f32_e32 v80, v83, v73
	v_fmac_f32_e32 v12, -0.5, v86
	s_delay_alu instid0(VALU_DEP_3) | instskip(NEXT) | instid1(VALU_DEP_1)
	v_dual_add_f32 v86, v26, v82 :: v_dual_add_f32 v25, v76, v81
	v_dual_sub_f32 v76, v68, v84 :: v_dual_add_f32 v25, v25, v73
	s_delay_alu instid0(VALU_DEP_1) | instskip(SKIP_2) | instid1(VALU_DEP_4)
	v_fmac_f32_e32 v77, 0xbf167918, v76
	v_fmac_f32_e32 v75, 0xbf167918, v64
	;; [unrolled: 1-line block ×3, first 2 shown]
	v_dual_add_f32 v64, v79, v80 :: v_dual_add_f32 v25, v25, v83
	v_sub_f32_e32 v79, v81, v71
	v_sub_f32_e32 v80, v73, v83
	;; [unrolled: 1-line block ×3, first 2 shown]
	s_delay_alu instid0(VALU_DEP_4)
	v_fmac_f32_e32 v77, 0x3e9e377a, v64
	v_fmac_f32_e32 v75, 0x3e9e377a, v66
	v_fmac_f32_e32 v69, 0x3e9e377a, v66
	v_fmamk_f32 v66, v76, 0xbf737871, v12
	v_dual_fmac_f32 v12, 0x3f737871, v76 :: v_dual_sub_f32 v73, v81, v73
	v_sub_f32_e32 v81, v82, v68
	s_delay_alu instid0(VALU_DEP_3) | instskip(NEXT) | instid1(VALU_DEP_3)
	v_dual_sub_f32 v83, v70, v84 :: v_dual_fmac_f32 v66, 0x3f167918, v78
	v_fmac_f32_e32 v12, 0xbf167918, v78
	v_dual_add_f32 v78, v82, v70 :: v_dual_fmac_f32 v67, 0x3f167918, v76
	v_add_f32_e32 v79, v79, v80
	v_add_f32_e32 v76, v86, v68
	v_fma_f32 v80, -0.5, v87, v26
	s_delay_alu instid0(VALU_DEP_4)
	v_fmac_f32_e32 v26, -0.5, v78
	v_add_f32_e32 v78, v81, v83
	v_sub_f32_e32 v68, v68, v82
	v_dual_sub_f32 v82, v29, v21 :: v_dual_sub_f32 v83, v32, v31
	v_fmac_f32_e32 v67, 0x3e9e377a, v64
	v_add_f32_e32 v81, v21, v31
	v_lshl_add_u32 v86, v17, 2, 0
	v_lshl_add_u32 v87, v10, 2, 0
	v_add_f32_e32 v82, v82, v83
	v_add_f32_e32 v64, v76, v84
	v_dual_fmamk_f32 v76, v71, 0xbf737871, v80 :: v_dual_sub_f32 v83, v21, v29
	v_fmac_f32_e32 v66, 0x3e9e377a, v79
	v_add_nc_u32_e32 v89, 0x2000, v86
	s_delay_alu instid0(VALU_DEP_4)
	v_add_f32_e32 v64, v64, v70
	v_sub_f32_e32 v70, v84, v70
	v_add_f32_e32 v84, v29, v32
	v_fmac_f32_e32 v76, 0xbf167918, v73
	v_add_nc_u32_e32 v88, 0x1c00, v86
	v_add_nc_u32_e32 v90, 0x2600, v87
	v_add_f32_e32 v68, v68, v70
	v_add_f32_e32 v70, v9, v29
	v_dual_sub_f32 v29, v29, v32 :: v_dual_fmac_f32 v12, 0x3e9e377a, v79
	v_fmac_f32_e32 v76, 0x3e9e377a, v78
	s_delay_alu instid0(VALU_DEP_3)
	v_dual_add_f32 v70, v70, v21 :: v_dual_add_nc_u32 v91, 0x2a00, v87
	v_sub_f32_e32 v21, v21, v31
	v_fmac_f32_e32 v80, 0x3f737871, v71
	v_fmamk_f32 v79, v73, 0x3f737871, v26
	v_fmac_f32_e32 v26, 0xbf737871, v73
	v_add_f32_e32 v70, v70, v31
	s_delay_alu instid0(VALU_DEP_4) | instskip(NEXT) | instid1(VALU_DEP_4)
	v_fmac_f32_e32 v80, 0x3f167918, v73
	v_fmac_f32_e32 v79, 0xbf167918, v71
	v_fma_f32 v73, -0.5, v81, v9
	v_dual_sub_f32 v81, v18, v30 :: v_dual_fmac_f32 v26, 0x3f167918, v71
	v_fmac_f32_e32 v9, -0.5, v84
	v_sub_f32_e32 v84, v31, v32
	v_dual_fmac_f32 v80, 0x3e9e377a, v78 :: v_dual_fmac_f32 v79, 0x3e9e377a, v68
	s_delay_alu instid0(VALU_DEP_4)
	v_dual_fmamk_f32 v71, v81, 0x3f737871, v73 :: v_dual_sub_f32 v78, v19, v22
	v_fmac_f32_e32 v73, 0xbf737871, v81
	v_fmac_f32_e32 v26, 0x3e9e377a, v68
	v_add_f32_e32 v68, v70, v32
	v_add_f32_e32 v32, v83, v84
	v_dual_add_f32 v83, v18, v30 :: v_dual_add_nc_u32 v84, 0x1200, v5
	ds_store_2addr_b32 v84, v36, v61 offset0:98 offset1:223
	v_add_nc_u32_e32 v61, 0x1600, v5
	v_fmac_f32_e32 v71, 0x3f167918, v78
	v_fmac_f32_e32 v73, 0xbf167918, v78
	v_fmamk_f32 v70, v78, 0xbf737871, v9
	v_fmac_f32_e32 v9, 0x3f737871, v78
	v_add_f32_e32 v78, v15, v18
	v_fmac_f32_e32 v71, 0x3e9e377a, v82
	v_fmac_f32_e32 v73, 0x3e9e377a, v82
	v_add_f32_e32 v82, v19, v22
	v_fmac_f32_e32 v70, 0x3f167918, v81
	v_dual_fmac_f32 v9, 0xbf167918, v81 :: v_dual_add_f32 v78, v78, v19
	s_delay_alu instid0(VALU_DEP_3) | instskip(NEXT) | instid1(VALU_DEP_3)
	v_fma_f32 v82, -0.5, v82, v15
	v_dual_fmac_f32 v15, -0.5, v83 :: v_dual_fmac_f32 v70, 0x3e9e377a, v32
	s_delay_alu instid0(VALU_DEP_3) | instskip(NEXT) | instid1(VALU_DEP_4)
	v_fmac_f32_e32 v9, 0x3e9e377a, v32
	v_add_f32_e32 v31, v78, v22
	s_delay_alu instid0(VALU_DEP_4)
	v_dual_fmamk_f32 v81, v29, 0xbf737871, v82 :: v_dual_sub_f32 v32, v18, v19
	v_sub_f32_e32 v78, v30, v22
	v_dual_fmac_f32 v82, 0x3f737871, v29 :: v_dual_fmamk_f32 v83, v21, 0x3f737871, v15
	v_sub_f32_e32 v18, v19, v18
	v_sub_f32_e32 v19, v22, v30
	v_fmac_f32_e32 v15, 0xbf737871, v21
	v_dual_fmac_f32 v81, 0xbf167918, v21 :: v_dual_add_f32 v22, v32, v78
	v_fmac_f32_e32 v82, 0x3f167918, v21
	s_delay_alu instid0(VALU_DEP_4) | instskip(NEXT) | instid1(VALU_DEP_4)
	v_dual_fmac_f32 v83, 0xbf167918, v29 :: v_dual_add_f32 v18, v18, v19
	v_dual_fmac_f32 v15, 0x3f167918, v29 :: v_dual_add_f32 v78, v31, v30
	s_delay_alu instid0(VALU_DEP_4) | instskip(NEXT) | instid1(VALU_DEP_4)
	v_fmac_f32_e32 v81, 0x3e9e377a, v22
	v_fmac_f32_e32 v82, 0x3e9e377a, v22
	s_delay_alu instid0(VALU_DEP_4) | instskip(NEXT) | instid1(VALU_DEP_4)
	v_fmac_f32_e32 v83, 0x3e9e377a, v18
	v_fmac_f32_e32 v15, 0x3e9e377a, v18
	ds_store_2addr_b32 v61, v58, v11 offset0:92 offset1:217
	ds_store_2addr_b32 v88, v25, v67 offset0:83 offset1:208
	ds_store_2addr_b32 v89, v66, v12 offset0:77 offset1:202
	ds_store_2addr_b32 v90, v68, v71 offset0:68 offset1:193
	ds_store_2addr_b32 v91, v70, v9 offset0:62 offset1:187
	ds_store_b32 v5, v72 offset:7000
	ds_store_b32 v86, v77 offset:9500
	;; [unrolled: 1-line block ×3, first 2 shown]
	global_wb scope:SCOPE_SE
	s_wait_dscnt 0x0
	s_barrier_signal -1
	s_barrier_wait -1
	global_inv scope:SCOPE_SE
	ds_load_2addr_b32 v[9:10], v0 offset1:125
	ds_load_2addr_b32 v[20:21], v45 offset0:116 offset1:241
	ds_load_2addr_b32 v[27:28], v46 offset0:98 offset1:223
	;; [unrolled: 1-line block ×11, first 2 shown]
	ds_load_b32 v25, v0 offset:12000
	global_wb scope:SCOPE_SE
	s_wait_dscnt 0x0
	s_barrier_signal -1
	s_barrier_wait -1
	global_inv scope:SCOPE_SE
	ds_store_2addr_b32 v0, v55, v53 offset1:125
	ds_store_2addr_b32 v38, v57, v54 offset0:122 offset1:247
	ds_store_2addr_b32 v45, v52, v59 offset0:116 offset1:241
	ds_store_2addr_b32 v39, v60, v65 offset0:110 offset1:235
	ds_store_2addr_b32 v44, v24, v74 offset0:104 offset1:229
	ds_store_2addr_b32 v84, v62, v63 offset0:98 offset1:223
	ds_store_2addr_b32 v61, v75, v69 offset0:92 offset1:217
	ds_store_2addr_b32 v88, v64, v76 offset0:83 offset1:208
	ds_store_2addr_b32 v89, v79, v26 offset0:77 offset1:202
	ds_store_2addr_b32 v90, v78, v81 offset0:68 offset1:193
	ds_store_2addr_b32 v91, v83, v15 offset0:62 offset1:187
	ds_store_b32 v5, v85 offset:7000
	ds_store_b32 v86, v80 offset:9500
	;; [unrolled: 1-line block ×3, first 2 shown]
	global_wb scope:SCOPE_SE
	s_wait_dscnt 0x0
	s_barrier_signal -1
	s_barrier_wait -1
	global_inv scope:SCOPE_SE
	s_and_saveexec_b32 s0, vcc_lo
	s_cbranch_execz .LBB0_15
; %bb.14:
	s_clause 0x1
	global_load_b128 v[52:55], v[7:8], off offset:4960
	global_load_b128 v[57:60], v[7:8], off offset:4976
	v_lshlrev_b32_e32 v5, 2, v51
	s_delay_alu instid0(VALU_DEP_1) | instskip(SKIP_1) | instid1(VALU_DEP_1)
	v_lshlrev_b64_e32 v[7:8], 3, v[5:6]
	v_lshlrev_b32_e32 v5, 2, v50
	v_lshlrev_b64_e32 v[50:51], 3, v[5:6]
	s_delay_alu instid0(VALU_DEP_3) | instskip(SKIP_1) | instid1(VALU_DEP_4)
	v_add_co_u32 v7, vcc_lo, s8, v7
	s_wait_alu 0xfffd
	v_add_co_ci_u32_e32 v8, vcc_lo, s9, v8, vcc_lo
	v_lshlrev_b32_e32 v5, 2, v49
	s_delay_alu instid0(VALU_DEP_4)
	v_add_co_u32 v50, vcc_lo, s8, v50
	global_load_b128 v[61:64], v[7:8], off offset:4960
	s_wait_alu 0xfffd
	v_add_co_ci_u32_e32 v51, vcc_lo, s9, v51, vcc_lo
	v_lshlrev_b64_e32 v[69:70], 3, v[5:6]
	v_lshlrev_b32_e32 v5, 2, v40
	global_load_b128 v[65:68], v[50:51], off offset:4960
	v_lshlrev_b64_e32 v[73:74], 3, v[5:6]
	v_add_co_u32 v85, vcc_lo, s8, v69
	s_wait_alu 0xfffd
	v_add_co_ci_u32_e32 v86, vcc_lo, s9, v70, vcc_lo
	s_delay_alu instid0(VALU_DEP_3)
	v_add_co_u32 v89, vcc_lo, s8, v73
	s_wait_alu 0xfffd
	v_add_co_ci_u32_e32 v90, vcc_lo, s9, v74, vcc_lo
	s_clause 0x5
	global_load_b128 v[69:72], v[85:86], off offset:4960
	global_load_b128 v[73:76], v[89:90], off offset:4960
	;; [unrolled: 1-line block ×6, first 2 shown]
	ds_load_2addr_b32 v[7:8], v46 offset0:98 offset1:223
	ds_load_2addr_b32 v[45:46], v45 offset0:116 offset1:241
	;; [unrolled: 1-line block ×4, first 2 shown]
	s_wait_loadcnt_dscnt 0x903
	v_mul_f32_e32 v24, v54, v7
	v_mul_f32_e32 v7, v55, v7
	s_wait_loadcnt_dscnt 0x800
	v_dual_mul_f32 v97, v59, v47 :: v_dual_mul_f32 v96, v57, v50
	s_delay_alu instid0(VALU_DEP_3) | instskip(NEXT) | instid1(VALU_DEP_3)
	v_dual_fmac_f32 v24, v27, v55 :: v_dual_mul_f32 v5, v53, v46
	v_fma_f32 v95, v27, v54, -v7
	s_delay_alu instid0(VALU_DEP_3) | instskip(NEXT) | instid1(VALU_DEP_4)
	v_fmac_f32_e32 v97, v16, v60
	v_fmac_f32_e32 v96, v36, v58
	s_delay_alu instid0(VALU_DEP_4) | instskip(SKIP_2) | instid1(VALU_DEP_2)
	v_fma_f32 v94, v21, v52, -v5
	v_mul_f32_e32 v5, v60, v47
	v_mul_lo_u32 v47, s2, v4
	v_fma_f32 v59, v16, v59, -v5
	ds_load_2addr_b32 v[15:16], v44 offset0:104 offset1:229
	ds_load_2addr_b32 v[26:27], v43 offset0:92 offset1:217
	v_mul_f32_e32 v93, v52, v46
	v_mul_lo_u32 v46, s3, v3
	s_wait_loadcnt 0x7
	v_mul_f32_e32 v5, v64, v49
	s_delay_alu instid0(VALU_DEP_1) | instskip(SKIP_2) | instid1(VALU_DEP_1)
	v_fma_f32 v44, v35, v63, -v5
	ds_load_2addr_b32 v[4:5], v39 offset0:110 offset1:235
	v_mul_f32_e32 v7, v58, v50
	v_fma_f32 v60, v36, v57, -v7
	s_wait_dscnt 0x2
	v_mul_f32_e32 v43, v61, v16
	s_wait_loadcnt 0x6
	v_dual_mul_f32 v7, v62, v16 :: v_dual_mul_f32 v50, v65, v15
	v_fmac_f32_e32 v93, v21, v53
	v_mul_f32_e32 v21, v63, v49
	v_fmac_f32_e32 v43, v34, v62
	s_delay_alu instid0(VALU_DEP_4)
	v_fma_f32 v49, v34, v61, -v7
	s_wait_dscnt 0x1
	v_dual_mul_f32 v51, v67, v27 :: v_dual_fmac_f32 v50, v33, v66
	v_fmac_f32_e32 v21, v35, v64
	v_mad_co_u64_u32 v[34:35], null, s2, v3, 0
	v_mul_f32_e32 v3, v66, v15
	ds_load_2addr_b32 v[15:16], v42 offset0:74 offset1:199
	v_mul_f32_e32 v7, v68, v27
	v_fma_f32 v52, v33, v65, -v3
	ds_load_b32 v3, v0 offset:12000
	ds_load_2addr_b32 v[39:40], v41 offset0:62 offset1:187
	v_fmac_f32_e32 v51, v32, v68
	v_fma_f32 v53, v32, v67, -v7
	ds_load_2addr_b32 v[32:33], v38 offset0:122 offset1:247
	ds_load_2addr_b32 v[36:37], v37 offset0:80 offset1:205
	ds_load_2addr_b32 v[41:42], v0 offset1:125
	s_wait_loadcnt 0x5
	v_mul_f32_e32 v0, v71, v26
	s_wait_dscnt 0x6
	v_mul_f32_e32 v38, v69, v5
	v_add3_u32 v35, v35, v47, v46
	s_delay_alu instid0(VALU_DEP_3) | instskip(NEXT) | instid1(VALU_DEP_3)
	v_fmac_f32_e32 v0, v31, v72
	v_fmac_f32_e32 v38, v30, v70
	v_sub_f32_e32 v54, v97, v96
	v_add_f32_e32 v27, v93, v97
	v_lshlrev_b64_e32 v[34:35], 3, v[34:35]
	s_wait_loadcnt_dscnt 0x304
	v_dual_mul_f32 v58, v79, v3 :: v_dual_mul_f32 v7, v72, v26
	s_wait_loadcnt_dscnt 0x203
	v_dual_sub_f32 v26, v24, v93 :: v_dual_mul_f32 v65, v83, v40
	s_wait_dscnt 0x0
	v_fma_f32 v27, -0.5, v27, v41
	v_fmac_f32_e32 v58, v25, v80
	v_fma_f32 v46, v31, v71, -v7
	v_sub_f32_e32 v31, v93, v24
	v_fmac_f32_e32 v65, v19, v84
	s_delay_alu instid0(VALU_DEP_2) | instskip(SKIP_3) | instid1(VALU_DEP_3)
	v_add_f32_e32 v62, v31, v54
	v_dual_mul_f32 v54, v75, v8 :: v_dual_mul_f32 v5, v70, v5
	v_sub_f32_e32 v70, v44, v49
	v_mul_f32_e32 v8, v76, v8
	v_fmac_f32_e32 v54, v28, v76
	s_delay_alu instid0(VALU_DEP_4)
	v_fma_f32 v5, v30, v69, -v5
	v_mul_f32_e32 v30, v73, v4
	s_wait_loadcnt 0x1
	v_dual_mul_f32 v4, v74, v4 :: v_dual_mul_f32 v69, v87, v39
	v_fma_f32 v28, v28, v75, -v8
	s_wait_loadcnt 0x0
	v_mul_f32_e32 v76, v89, v36
	v_fmac_f32_e32 v30, v29, v74
	v_fma_f32 v55, v29, v73, -v4
	v_dual_add_f32 v4, v24, v96 :: v_dual_add_f32 v29, v93, v41
	v_mul_f32_e32 v36, v90, v36
	v_fmac_f32_e32 v76, v13, v90
	s_delay_alu instid0(VALU_DEP_3) | instskip(SKIP_4) | instid1(VALU_DEP_2)
	v_add_f32_e32 v64, v24, v29
	v_sub_f32_e32 v63, v24, v96
	v_fma_f32 v24, -0.5, v4, v41
	v_mul_f32_e32 v4, v78, v16
	v_dual_mul_f32 v41, v77, v16 :: v_dual_sub_f32 v68, v43, v21
	v_fma_f32 v16, v23, v77, -v4
	v_mul_f32_e32 v3, v80, v3
	v_mul_f32_e32 v4, v82, v15
	v_dual_sub_f32 v80, v52, v53 :: v_dual_fmac_f32 v69, v18, v88
	s_delay_alu instid0(VALU_DEP_3) | instskip(SKIP_1) | instid1(VALU_DEP_4)
	v_fma_f32 v25, v25, v79, -v3
	v_mul_f32_e32 v3, v84, v40
	v_fma_f32 v66, v22, v81, -v4
	v_add_f32_e32 v4, v43, v58
	s_delay_alu instid0(VALU_DEP_3) | instskip(SKIP_4) | instid1(VALU_DEP_4)
	v_fma_f32 v67, v19, v83, -v3
	v_fmac_f32_e32 v41, v23, v78
	v_sub_f32_e32 v47, v94, v59
	v_mul_f32_e32 v23, v81, v15
	v_fma_f32 v4, -0.5, v4, v45
	v_dual_mul_f32 v39, v88, v39 :: v_dual_sub_f32 v40, v41, v58
	v_sub_f32_e32 v7, v96, v97
	v_fmamk_f32 v31, v47, 0x3f737871, v24
	v_dual_fmac_f32 v24, 0xbf737871, v47 :: v_dual_sub_f32 v61, v95, v60
	v_sub_f32_e32 v15, v21, v43
	s_delay_alu instid0(VALU_DEP_4) | instskip(SKIP_4) | instid1(VALU_DEP_4)
	v_add_f32_e32 v57, v26, v7
	v_add_f32_e32 v7, v94, v59
	v_fma_f32 v72, v18, v87, -v39
	v_add_f32_e32 v18, v50, v65
	v_dual_fmac_f32 v23, v22, v82 :: v_dual_add_f32 v22, v44, v16
	v_fma_f32 v26, -0.5, v7, v9
	v_add_f32_e32 v7, v21, v41
	v_sub_f32_e32 v81, v67, v66
	v_add_f32_e32 v71, v15, v40
	v_sub_f32_e32 v15, v49, v44
	v_add_f32_e32 v3, v49, v25
	v_fma_f32 v8, -0.5, v7, v45
	v_fma_f32 v7, -0.5, v22, v20
	v_sub_f32_e32 v22, v58, v41
	v_dual_add_f32 v80, v80, v81 :: v_dual_fmamk_f32 v29, v61, 0xbf737871, v27
	v_fmac_f32_e32 v27, 0x3f737871, v61
	v_dual_add_f32 v19, v43, v45 :: v_dual_add_f32 v82, v53, v66
	v_fma_f32 v3, -0.5, v3, v20
	s_delay_alu instid0(VALU_DEP_4) | instskip(NEXT) | instid1(VALU_DEP_4)
	v_dual_fmac_f32 v29, 0x3f167918, v47 :: v_dual_sub_f32 v74, v53, v66
	v_fmac_f32_e32 v27, 0xbf167918, v47
	v_sub_f32_e32 v47, v49, v25
	v_add_f32_e32 v20, v20, v49
	v_dual_add_f32 v49, v68, v22 :: v_dual_sub_f32 v22, v25, v16
	s_delay_alu instid0(VALU_DEP_4) | instskip(SKIP_4) | instid1(VALU_DEP_4)
	v_fmac_f32_e32 v27, 0x3e9e377a, v57
	v_mul_f32_e32 v68, v85, v37
	v_fma_f32 v78, v13, v89, -v36
	v_dual_sub_f32 v36, v66, v67 :: v_dual_fmac_f32 v29, 0x3e9e377a, v57
	v_sub_f32_e32 v57, v16, v25
	v_dual_sub_f32 v45, v44, v16 :: v_dual_fmac_f32 v68, v14, v86
	v_add_f32_e32 v19, v21, v19
	v_mul_f32_e32 v75, v91, v48
	s_delay_alu instid0(VALU_DEP_4)
	v_dual_add_f32 v57, v70, v57 :: v_dual_add_f32 v70, v15, v22
	v_dual_add_f32 v15, v44, v20 :: v_dual_sub_f32 v20, v51, v50
	v_sub_f32_e32 v44, v52, v67
	v_sub_f32_e32 v40, v21, v41
	v_mul_f32_e32 v21, v86, v37
	v_mul_f32_e32 v37, v92, v48
	v_add_f32_e32 v48, v52, v67
	v_sub_f32_e32 v22, v23, v65
	v_fmac_f32_e32 v31, 0x3f167918, v61
	v_sub_f32_e32 v43, v43, v58
	v_fma_f32 v77, v17, v91, -v37
	v_fma_f32 v73, v14, v85, -v21
	v_add_f32_e32 v84, v20, v22
	v_fma_f32 v20, -0.5, v18, v33
	v_dual_sub_f32 v37, v53, v52 :: v_dual_sub_f32 v14, v50, v51
	v_dual_sub_f32 v21, v65, v23 :: v_dual_add_f32 v52, v12, v52
	s_delay_alu instid0(VALU_DEP_2)
	v_dual_add_f32 v39, v51, v23 :: v_dual_add_f32 v86, v37, v36
	v_dual_add_f32 v36, v0, v68 :: v_dual_add_f32 v41, v41, v19
	v_fmac_f32_e32 v75, v17, v92
	v_add_f32_e32 v17, v50, v33
	v_sub_f32_e32 v50, v50, v65
	v_dual_add_f32 v85, v14, v21 :: v_dual_fmamk_f32 v14, v47, 0x3f737871, v8
	v_dual_fmac_f32 v8, 0xbf737871, v47 :: v_dual_fmamk_f32 v13, v43, 0xbf737871, v7
	v_fmac_f32_e32 v7, 0x3f737871, v43
	v_fma_f32 v19, -0.5, v48, v12
	v_fma_f32 v21, -0.5, v82, v12
	v_add_f32_e32 v12, v53, v52
	v_dual_add_f32 v18, v58, v41 :: v_dual_add_f32 v83, v15, v16
	v_fmamk_f32 v16, v45, 0xbf737871, v4
	v_fmac_f32_e32 v4, 0x3f737871, v45
	v_add_f32_e32 v48, v5, v72
	v_add_f32_e32 v52, v11, v5
	v_fmac_f32_e32 v8, 0xbf167918, v45
	v_fmac_f32_e32 v16, 0x3f167918, v47
	v_dual_fmac_f32 v4, 0xbf167918, v47 :: v_dual_fmac_f32 v13, 0xbf167918, v40
	v_fmac_f32_e32 v7, 0x3f167918, v40
	v_add_f32_e32 v47, v12, v66
	v_fmamk_f32 v15, v40, 0x3f737871, v3
	v_fmac_f32_e32 v3, 0xbf737871, v40
	v_sub_f32_e32 v40, v73, v72
	v_fma_f32 v22, -0.5, v39, v33
	v_dual_add_f32 v33, v38, v69 :: v_dual_fmac_f32 v4, 0x3e9e377a, v71
	v_fma_f32 v37, -0.5, v36, v32
	v_dual_sub_f32 v41, v0, v38 :: v_dual_fmac_f32 v8, 0x3e9e377a, v49
	s_delay_alu instid0(VALU_DEP_3)
	v_fma_f32 v33, -0.5, v33, v32
	v_dual_fmac_f32 v14, 0x3f167918, v45 :: v_dual_add_f32 v39, v38, v32
	v_fma_f32 v32, -0.5, v48, v11
	v_dual_sub_f32 v48, v68, v69 :: v_dual_sub_f32 v79, v51, v23
	v_dual_sub_f32 v58, v0, v68 :: v_dual_add_f32 v51, v51, v17
	v_fmac_f32_e32 v16, 0x3e9e377a, v71
	v_dual_fmamk_f32 v12, v74, 0xbf737871, v20 :: v_dual_add_f32 v17, v83, v25
	v_dual_fmac_f32 v20, 0x3f737871, v74 :: v_dual_add_f32 v25, v46, v73
	v_dual_fmac_f32 v3, 0x3f167918, v43 :: v_dual_add_f32 v66, v41, v48
	v_fmac_f32_e32 v14, 0x3e9e377a, v49
	s_delay_alu instid0(VALU_DEP_3) | instskip(NEXT) | instid1(VALU_DEP_4)
	v_fmac_f32_e32 v20, 0xbf167918, v44
	v_fma_f32 v36, -0.5, v25, v11
	v_dual_sub_f32 v11, v38, v0 :: v_dual_add_f32 v0, v0, v39
	v_fmac_f32_e32 v15, 0xbf167918, v43
	v_sub_f32_e32 v43, v46, v5
	v_fmamk_f32 v39, v44, 0x3f737871, v22
	v_fmac_f32_e32 v22, 0xbf737871, v44
	v_sub_f32_e32 v25, v5, v72
	v_sub_f32_e32 v53, v46, v73
	;; [unrolled: 1-line block ×3, first 2 shown]
	v_fmac_f32_e32 v13, 0x3e9e377a, v70
	v_fmac_f32_e32 v7, 0x3e9e377a, v70
	;; [unrolled: 1-line block ×3, first 2 shown]
	v_sub_f32_e32 v70, v55, v28
	v_add_f32_e32 v83, v43, v40
	v_dual_add_f32 v43, v46, v52 :: v_dual_sub_f32 v52, v28, v55
	s_delay_alu instid0(VALU_DEP_4) | instskip(SKIP_4) | instid1(VALU_DEP_3)
	v_fmac_f32_e32 v22, 0x3e9e377a, v85
	v_sub_f32_e32 v81, v38, v69
	v_dual_fmamk_f32 v38, v50, 0xbf737871, v21 :: v_dual_sub_f32 v5, v5, v46
	v_add_f32_e32 v0, v68, v0
	v_dual_add_f32 v68, v43, v73 :: v_dual_fmac_f32 v21, 0x3f737871, v50
	v_fmac_f32_e32 v38, 0xbf167918, v79
	v_add_f32_e32 v82, v11, v45
	v_fmamk_f32 v11, v79, 0x3f737871, v19
	v_fmac_f32_e32 v19, 0xbf737871, v79
	v_dual_sub_f32 v45, v54, v30 :: v_dual_fmac_f32 v20, 0x3e9e377a, v84
	v_sub_f32_e32 v46, v76, v75
	v_dual_sub_f32 v48, v30, v54 :: v_dual_sub_f32 v49, v75, v76
	v_fmac_f32_e32 v12, 0x3f167918, v44
	v_dual_add_f32 v44, v30, v42 :: v_dual_add_f32 v23, v23, v51
	v_fmac_f32_e32 v11, 0xbf167918, v50
	v_dual_fmac_f32 v19, 0x3f167918, v50 :: v_dual_sub_f32 v50, v78, v77
	v_add_f32_e32 v71, v45, v46
	v_dual_sub_f32 v46, v77, v78 :: v_dual_sub_f32 v51, v72, v73
	v_fmac_f32_e32 v39, 0x3f167918, v74
	v_add_f32_e32 v73, v48, v49
	v_add_f32_e32 v74, v52, v50
	s_delay_alu instid0(VALU_DEP_4) | instskip(SKIP_4) | instid1(VALU_DEP_4)
	v_add_f32_e32 v70, v70, v46
	v_dual_fmamk_f32 v46, v58, 0x3f737871, v32 :: v_dual_add_f32 v5, v5, v51
	v_fmac_f32_e32 v12, 0x3e9e377a, v84
	v_fmamk_f32 v48, v81, 0xbf737871, v36
	v_add_f32_e32 v40, v47, v67
	v_dual_add_f32 v47, v30, v75 :: v_dual_fmac_f32 v46, 0xbf167918, v81
	v_sub_f32_e32 v30, v30, v75
	v_sub_f32_e32 v67, v54, v76
	v_dual_add_f32 v51, v54, v76 :: v_dual_fmac_f32 v36, 0x3f737871, v81
	v_dual_add_f32 v54, v54, v44 :: v_dual_fmac_f32 v15, 0x3e9e377a, v57
	v_fmac_f32_e32 v32, 0xbf737871, v58
	s_delay_alu instid0(VALU_DEP_3) | instskip(NEXT) | instid1(VALU_DEP_4)
	v_fma_f32 v45, -0.5, v51, v42
	v_fmac_f32_e32 v36, 0x3f167918, v58
	v_add_f32_e32 v51, v28, v78
	v_dual_fmac_f32 v3, 0x3e9e377a, v57 :: v_dual_fmac_f32 v46, 0x3e9e377a, v83
	v_fma_f32 v43, -0.5, v47, v42
	s_delay_alu instid0(VALU_DEP_4) | instskip(NEXT) | instid1(VALU_DEP_4)
	v_fmac_f32_e32 v36, 0x3e9e377a, v5
	v_fma_f32 v44, -0.5, v51, v10
	v_dual_add_f32 v51, v69, v0 :: v_dual_add_f32 v0, v76, v54
	v_dual_add_f32 v41, v65, v23 :: v_dual_fmac_f32 v38, 0x3e9e377a, v80
	s_delay_alu instid0(VALU_DEP_3) | instskip(SKIP_4) | instid1(VALU_DEP_4)
	v_fmamk_f32 v54, v30, 0xbf737871, v44
	v_dual_fmac_f32 v44, 0x3f737871, v30 :: v_dual_add_f32 v57, v55, v77
	v_dual_sub_f32 v23, v55, v77 :: v_dual_fmac_f32 v48, 0xbf167918, v58
	v_dual_fmamk_f32 v47, v53, 0xbf737871, v33 :: v_dual_add_f32 v58, v75, v0
	v_add_f32_e32 v0, v96, v64
	v_fma_f32 v42, -0.5, v57, v10
	v_dual_fmac_f32 v24, 0xbf167918, v61 :: v_dual_sub_f32 v65, v28, v78
	v_fmac_f32_e32 v32, 0x3f167918, v81
	s_delay_alu instid0(VALU_DEP_3)
	v_dual_fmac_f32 v33, 0x3f737871, v53 :: v_dual_fmamk_f32 v52, v67, 0x3f737871, v42
	v_fmac_f32_e32 v42, 0xbf737871, v67
	v_fmamk_f32 v49, v25, 0x3f737871, v37
	v_fmac_f32_e32 v37, 0xbf737871, v25
	v_fmac_f32_e32 v47, 0x3f167918, v25
	v_dual_fmac_f32 v52, 0xbf167918, v30 :: v_dual_add_f32 v55, v10, v55
	v_fmac_f32_e32 v48, 0x3e9e377a, v5
	v_fmac_f32_e32 v42, 0x3f167918, v30
	;; [unrolled: 1-line block ×3, first 2 shown]
	s_delay_alu instid0(VALU_DEP_4) | instskip(SKIP_4) | instid1(VALU_DEP_4)
	v_fmac_f32_e32 v52, 0x3e9e377a, v74
	v_add_f32_e32 v10, v28, v55
	v_fmac_f32_e32 v21, 0x3f167918, v79
	v_dual_fmac_f32 v11, 0x3e9e377a, v86 :: v_dual_sub_f32 v30, v59, v60
	v_sub_f32_e32 v5, v95, v94
	v_add_f32_e32 v10, v10, v78
	v_fmac_f32_e32 v31, 0x3e9e377a, v62
	v_fmac_f32_e32 v24, 0x3e9e377a, v62
	v_add_f32_e32 v62, v9, v94
	s_delay_alu instid0(VALU_DEP_4) | instskip(SKIP_4) | instid1(VALU_DEP_3)
	v_dual_fmamk_f32 v28, v63, 0x3f737871, v26 :: v_dual_add_f32 v57, v10, v77
	v_add_f32_e32 v10, v97, v0
	v_dual_sub_f32 v0, v94, v95 :: v_dual_fmac_f32 v33, 0xbf167918, v25
	v_fmac_f32_e32 v49, 0x3f167918, v53
	v_fmamk_f32 v55, v23, 0x3f737871, v45
	v_dual_fmac_f32 v45, 0xbf737871, v23 :: v_dual_add_f32 v64, v0, v30
	v_dual_add_f32 v0, v95, v62 :: v_dual_fmac_f32 v37, 0xbf167918, v53
	v_dual_fmamk_f32 v53, v65, 0xbf737871, v43 :: v_dual_fmac_f32 v26, 0xbf737871, v63
	v_fmac_f32_e32 v43, 0x3f737871, v65
	v_dual_sub_f32 v25, v93, v97 :: v_dual_add_nc_u32 v62, 0x7d, v56
	s_delay_alu instid0(VALU_DEP_3) | instskip(SKIP_1) | instid1(VALU_DEP_4)
	v_fmac_f32_e32 v53, 0x3f167918, v23
	v_mul_hi_u32 v61, 0xd1b71759, v56
	v_fmac_f32_e32 v43, 0xbf167918, v23
	v_sub_f32_e32 v23, v60, v59
	v_add_f32_e32 v0, v0, v60
	v_fmac_f32_e32 v44, 0x3f167918, v67
	v_dual_fmac_f32 v39, 0x3e9e377a, v85 :: v_dual_fmac_f32 v42, 0x3e9e377a, v74
	s_delay_alu instid0(VALU_DEP_4) | instskip(NEXT) | instid1(VALU_DEP_3)
	v_add_f32_e32 v5, v5, v23
	v_dual_add_f32 v23, v95, v60 :: v_dual_fmac_f32 v44, 0x3e9e377a, v70
	v_dual_fmac_f32 v21, 0x3e9e377a, v80 :: v_dual_fmac_f32 v54, 0x3e9e377a, v70
	v_fmac_f32_e32 v49, 0x3e9e377a, v82
	s_delay_alu instid0(VALU_DEP_3) | instskip(SKIP_3) | instid1(VALU_DEP_4)
	v_fma_f32 v23, -0.5, v23, v9
	v_lshrrev_b32_e32 v9, 9, v61
	v_dual_fmac_f32 v37, 0x3e9e377a, v82 :: v_dual_add_f32 v50, v68, v72
	v_fmac_f32_e32 v32, 0x3e9e377a, v83
	v_fmamk_f32 v30, v25, 0xbf737871, v23
	s_delay_alu instid0(VALU_DEP_4) | instskip(SKIP_2) | instid1(VALU_DEP_4)
	v_mul_u32_u24_e32 v60, 0x271, v9
	v_add_f32_e32 v9, v0, v59
	v_lshlrev_b64_e32 v[0:1], 3, v[1:2]
	v_fmac_f32_e32 v30, 0xbf167918, v63
	v_fmac_f32_e32 v28, 0xbf167918, v25
	;; [unrolled: 1-line block ×4, first 2 shown]
	v_mul_hi_u32 v25, 0xd1b71759, v62
	v_sub_nc_u32_e32 v59, v56, v60
	v_dual_fmac_f32 v19, 0x3e9e377a, v86 :: v_dual_fmac_f32 v28, 0x3e9e377a, v5
	s_delay_alu instid0(VALU_DEP_4)
	v_fmac_f32_e32 v23, 0x3f167918, v63
	v_dual_fmac_f32 v47, 0x3e9e377a, v66 :: v_dual_fmac_f32 v26, 0x3e9e377a, v5
	v_dual_fmac_f32 v33, 0x3e9e377a, v66 :: v_dual_fmac_f32 v30, 0x3e9e377a, v64
	v_lshrrev_b32_e32 v2, 9, v25
	v_add_co_u32 v25, vcc_lo, s6, v34
	s_wait_alu 0xfffd
	v_add_co_ci_u32_e32 v34, vcc_lo, s7, v35, vcc_lo
	v_lshlrev_b32_e32 v35, 3, v59
	v_mul_u32_u24_e32 v59, 0x271, v2
	v_add_co_u32 v60, vcc_lo, v25, v0
	s_wait_alu 0xfffd
	v_add_co_ci_u32_e32 v34, vcc_lo, v34, v1, vcc_lo
	s_delay_alu instid0(VALU_DEP_3) | instskip(NEXT) | instid1(VALU_DEP_3)
	v_sub_nc_u32_e32 v25, v62, v59
	v_add_co_u32 v0, vcc_lo, v60, v35
	s_wait_alu 0xfffd
	s_delay_alu instid0(VALU_DEP_3) | instskip(NEXT) | instid1(VALU_DEP_3)
	v_add_co_ci_u32_e32 v1, vcc_lo, 0, v34, vcc_lo
	v_mad_u32_u24 v5, 0xc35, v2, v25
	v_add_nc_u32_e32 v2, 0xfa, v56
	v_fmac_f32_e32 v23, 0x3e9e377a, v64
	s_clause 0x4
	global_store_b64 v[0:1], v[9:10], off
	global_store_b64 v[0:1], v[23:24], off offset:5000
	global_store_b64 v[0:1], v[26:27], off offset:10000
	;; [unrolled: 1-line block ×4, first 2 shown]
	v_mul_hi_u32 v27, 0xd1b71759, v2
	v_dual_mov_b32 v10, v6 :: v_dual_add_nc_u32 v9, 0x271, v5
	v_lshlrev_b64_e32 v[0:1], 3, v[5:6]
	v_dual_mov_b32 v24, v6 :: v_dual_add_nc_u32 v23, 0x4e2, v5
	v_add_nc_u32_e32 v25, 0x753, v5
	v_add_nc_u32_e32 v5, 0x9c4, v5
	v_lshrrev_b32_e32 v29, 9, v27
	v_lshlrev_b64_e32 v[9:10], 3, v[9:10]
	v_mov_b32_e32 v26, v6
	v_add_co_u32 v0, vcc_lo, v60, v0
	v_lshlrev_b64_e32 v[23:24], 3, v[23:24]
	v_lshlrev_b64_e32 v[27:28], 3, v[5:6]
	v_mul_u32_u24_e32 v5, 0x271, v29
	s_wait_alu 0xfffd
	v_add_co_ci_u32_e32 v1, vcc_lo, v34, v1, vcc_lo
	v_add_co_u32 v9, vcc_lo, v60, v9
	v_lshlrev_b64_e32 v[25:26], 3, v[25:26]
	s_wait_alu 0xfffd
	v_add_co_ci_u32_e32 v10, vcc_lo, v34, v10, vcc_lo
	v_sub_nc_u32_e32 v2, v2, v5
	v_fmac_f32_e32 v45, 0xbf167918, v65
	v_add_co_u32 v23, vcc_lo, v60, v23
	s_wait_alu 0xfffd
	v_add_co_ci_u32_e32 v24, vcc_lo, v34, v24, vcc_lo
	v_fmac_f32_e32 v55, 0x3f167918, v65
	v_add_co_u32 v25, vcc_lo, v60, v25
	v_mad_u32_u24 v5, 0xc35, v29, v2
	v_add_nc_u32_e32 v2, 0x177, v56
	v_fmac_f32_e32 v45, 0x3e9e377a, v73
	s_wait_alu 0xfffd
	v_add_co_ci_u32_e32 v26, vcc_lo, v34, v26, vcc_lo
	v_fmac_f32_e32 v43, 0x3e9e377a, v71
	v_add_co_u32 v27, vcc_lo, v60, v27
	v_fmac_f32_e32 v53, 0x3e9e377a, v71
	v_fmac_f32_e32 v55, 0x3e9e377a, v73
	s_wait_alu 0xfffd
	v_add_co_ci_u32_e32 v28, vcc_lo, v34, v28, vcc_lo
	s_clause 0x4
	global_store_b64 v[0:1], v[57:58], off
	global_store_b64 v[9:10], v[44:45], off
	;; [unrolled: 1-line block ×5, first 2 shown]
	v_mul_hi_u32 v27, 0xd1b71759, v2
	v_dual_mov_b32 v10, v6 :: v_dual_add_nc_u32 v9, 0x271, v5
	v_lshlrev_b64_e32 v[0:1], 3, v[5:6]
	v_dual_mov_b32 v24, v6 :: v_dual_add_nc_u32 v23, 0x4e2, v5
	v_add_nc_u32_e32 v25, 0x753, v5
	v_add_nc_u32_e32 v5, 0x9c4, v5
	v_lshrrev_b32_e32 v29, 9, v27
	v_lshlrev_b64_e32 v[9:10], 3, v[9:10]
	v_mov_b32_e32 v26, v6
	v_add_co_u32 v0, vcc_lo, v60, v0
	v_lshlrev_b64_e32 v[23:24], 3, v[23:24]
	v_lshlrev_b64_e32 v[27:28], 3, v[5:6]
	v_mul_u32_u24_e32 v5, 0x271, v29
	s_wait_alu 0xfffd
	v_add_co_ci_u32_e32 v1, vcc_lo, v34, v1, vcc_lo
	v_add_co_u32 v9, vcc_lo, v60, v9
	v_lshlrev_b64_e32 v[25:26], 3, v[25:26]
	s_wait_alu 0xfffd
	v_add_co_ci_u32_e32 v10, vcc_lo, v34, v10, vcc_lo
	v_sub_nc_u32_e32 v2, v2, v5
	v_add_co_u32 v23, vcc_lo, v60, v23
	s_wait_alu 0xfffd
	v_add_co_ci_u32_e32 v24, vcc_lo, v34, v24, vcc_lo
	v_add_co_u32 v25, vcc_lo, v60, v25
	v_mad_u32_u24 v5, 0xc35, v29, v2
	v_add_nc_u32_e32 v2, 0x1f4, v56
	s_wait_alu 0xfffd
	v_add_co_ci_u32_e32 v26, vcc_lo, v34, v26, vcc_lo
	v_add_co_u32 v27, vcc_lo, v60, v27
	s_wait_alu 0xfffd
	v_add_co_ci_u32_e32 v28, vcc_lo, v34, v28, vcc_lo
	s_clause 0x4
	global_store_b64 v[0:1], v[50:51], off
	global_store_b64 v[9:10], v[36:37], off
	;; [unrolled: 1-line block ×5, first 2 shown]
	v_mul_hi_u32 v27, 0xd1b71759, v2
	v_dual_mov_b32 v10, v6 :: v_dual_add_nc_u32 v9, 0x271, v5
	v_lshlrev_b64_e32 v[0:1], 3, v[5:6]
	v_dual_mov_b32 v24, v6 :: v_dual_add_nc_u32 v23, 0x4e2, v5
	v_add_nc_u32_e32 v25, 0x753, v5
	s_delay_alu instid0(VALU_DEP_4) | instskip(SKIP_4) | instid1(VALU_DEP_4)
	v_lshlrev_b64_e32 v[9:10], 3, v[9:10]
	v_lshrrev_b32_e32 v29, 9, v27
	v_mov_b32_e32 v26, v6
	v_add_co_u32 v0, vcc_lo, v60, v0
	v_lshlrev_b64_e32 v[23:24], 3, v[23:24]
	v_mul_u32_u24_e32 v30, 0x271, v29
	v_add_nc_u32_e32 v5, 0x9c4, v5
	s_wait_alu 0xfffd
	v_add_co_ci_u32_e32 v1, vcc_lo, v34, v1, vcc_lo
	v_add_co_u32 v9, vcc_lo, v60, v9
	v_sub_nc_u32_e32 v2, v2, v30
	v_mov_b32_e32 v30, v6
	v_lshlrev_b64_e32 v[25:26], 3, v[25:26]
	s_wait_alu 0xfffd
	v_add_co_ci_u32_e32 v10, vcc_lo, v34, v10, vcc_lo
	v_add_co_u32 v23, vcc_lo, v60, v23
	v_lshlrev_b64_e32 v[27:28], 3, v[5:6]
	v_mad_u32_u24 v5, 0xc35, v29, v2
	s_wait_alu 0xfffd
	v_add_co_ci_u32_e32 v24, vcc_lo, v34, v24, vcc_lo
	v_add_co_u32 v25, vcc_lo, v60, v25
	s_wait_alu 0xfffd
	v_add_co_ci_u32_e32 v26, vcc_lo, v34, v26, vcc_lo
	v_add_nc_u32_e32 v29, 0x271, v5
	s_clause 0x3
	global_store_b64 v[0:1], v[40:41], off
	global_store_b64 v[9:10], v[21:22], off
	;; [unrolled: 1-line block ×4, first 2 shown]
	v_lshlrev_b64_e32 v[0:1], 3, v[5:6]
	v_dual_mov_b32 v12, v6 :: v_dual_add_nc_u32 v11, 0x4e2, v5
	v_add_co_u32 v27, vcc_lo, v60, v27
	v_lshlrev_b64_e32 v[9:10], 3, v[29:30]
	v_dual_mov_b32 v20, v6 :: v_dual_add_nc_u32 v19, 0x753, v5
	s_wait_alu 0xfffd
	v_add_co_ci_u32_e32 v28, vcc_lo, v34, v28, vcc_lo
	v_add_co_u32 v0, vcc_lo, v60, v0
	v_lshlrev_b64_e32 v[11:12], 3, v[11:12]
	v_add_nc_u32_e32 v5, 0x9c4, v5
	s_wait_alu 0xfffd
	v_add_co_ci_u32_e32 v1, vcc_lo, v34, v1, vcc_lo
	v_add_co_u32 v9, vcc_lo, v60, v9
	v_lshlrev_b64_e32 v[19:20], 3, v[19:20]
	s_wait_alu 0xfffd
	v_add_co_ci_u32_e32 v10, vcc_lo, v34, v10, vcc_lo
	v_add_co_u32 v11, vcc_lo, v60, v11
	v_lshlrev_b64_e32 v[5:6], 3, v[5:6]
	s_wait_alu 0xfffd
	v_add_co_ci_u32_e32 v12, vcc_lo, v34, v12, vcc_lo
	v_add_co_u32 v19, vcc_lo, v60, v19
	s_wait_alu 0xfffd
	v_add_co_ci_u32_e32 v20, vcc_lo, v34, v20, vcc_lo
	v_add_co_u32 v5, vcc_lo, v60, v5
	s_wait_alu 0xfffd
	v_add_co_ci_u32_e32 v6, vcc_lo, v34, v6, vcc_lo
	s_clause 0x5
	global_store_b64 v[27:28], v[38:39], off
	global_store_b64 v[0:1], v[17:18], off
	;; [unrolled: 1-line block ×6, first 2 shown]
.LBB0_15:
	s_nop 0
	s_sendmsg sendmsg(MSG_DEALLOC_VGPRS)
	s_endpgm
	.section	.rodata,"a",@progbits
	.p2align	6, 0x0
	.amdhsa_kernel fft_rtc_fwd_len3125_factors_5_5_5_5_5_wgs_125_tpt_125_halfLds_sp_op_CI_CI_unitstride_sbrr_dirReg
		.amdhsa_group_segment_fixed_size 0
		.amdhsa_private_segment_fixed_size 0
		.amdhsa_kernarg_size 104
		.amdhsa_user_sgpr_count 2
		.amdhsa_user_sgpr_dispatch_ptr 0
		.amdhsa_user_sgpr_queue_ptr 0
		.amdhsa_user_sgpr_kernarg_segment_ptr 1
		.amdhsa_user_sgpr_dispatch_id 0
		.amdhsa_user_sgpr_private_segment_size 0
		.amdhsa_wavefront_size32 1
		.amdhsa_uses_dynamic_stack 0
		.amdhsa_enable_private_segment 0
		.amdhsa_system_sgpr_workgroup_id_x 1
		.amdhsa_system_sgpr_workgroup_id_y 0
		.amdhsa_system_sgpr_workgroup_id_z 0
		.amdhsa_system_sgpr_workgroup_info 0
		.amdhsa_system_vgpr_workitem_id 0
		.amdhsa_next_free_vgpr 101
		.amdhsa_next_free_sgpr 39
		.amdhsa_reserve_vcc 1
		.amdhsa_float_round_mode_32 0
		.amdhsa_float_round_mode_16_64 0
		.amdhsa_float_denorm_mode_32 3
		.amdhsa_float_denorm_mode_16_64 3
		.amdhsa_fp16_overflow 0
		.amdhsa_workgroup_processor_mode 1
		.amdhsa_memory_ordered 1
		.amdhsa_forward_progress 0
		.amdhsa_round_robin_scheduling 0
		.amdhsa_exception_fp_ieee_invalid_op 0
		.amdhsa_exception_fp_denorm_src 0
		.amdhsa_exception_fp_ieee_div_zero 0
		.amdhsa_exception_fp_ieee_overflow 0
		.amdhsa_exception_fp_ieee_underflow 0
		.amdhsa_exception_fp_ieee_inexact 0
		.amdhsa_exception_int_div_zero 0
	.end_amdhsa_kernel
	.text
.Lfunc_end0:
	.size	fft_rtc_fwd_len3125_factors_5_5_5_5_5_wgs_125_tpt_125_halfLds_sp_op_CI_CI_unitstride_sbrr_dirReg, .Lfunc_end0-fft_rtc_fwd_len3125_factors_5_5_5_5_5_wgs_125_tpt_125_halfLds_sp_op_CI_CI_unitstride_sbrr_dirReg
                                        ; -- End function
	.section	.AMDGPU.csdata,"",@progbits
; Kernel info:
; codeLenInByte = 18440
; NumSgprs: 41
; NumVgprs: 101
; ScratchSize: 0
; MemoryBound: 0
; FloatMode: 240
; IeeeMode: 1
; LDSByteSize: 0 bytes/workgroup (compile time only)
; SGPRBlocks: 5
; VGPRBlocks: 12
; NumSGPRsForWavesPerEU: 41
; NumVGPRsForWavesPerEU: 101
; Occupancy: 12
; WaveLimiterHint : 1
; COMPUTE_PGM_RSRC2:SCRATCH_EN: 0
; COMPUTE_PGM_RSRC2:USER_SGPR: 2
; COMPUTE_PGM_RSRC2:TRAP_HANDLER: 0
; COMPUTE_PGM_RSRC2:TGID_X_EN: 1
; COMPUTE_PGM_RSRC2:TGID_Y_EN: 0
; COMPUTE_PGM_RSRC2:TGID_Z_EN: 0
; COMPUTE_PGM_RSRC2:TIDIG_COMP_CNT: 0
	.text
	.p2alignl 7, 3214868480
	.fill 96, 4, 3214868480
	.type	__hip_cuid_ae43a3a9aabfae7f,@object ; @__hip_cuid_ae43a3a9aabfae7f
	.section	.bss,"aw",@nobits
	.globl	__hip_cuid_ae43a3a9aabfae7f
__hip_cuid_ae43a3a9aabfae7f:
	.byte	0                               ; 0x0
	.size	__hip_cuid_ae43a3a9aabfae7f, 1

	.ident	"AMD clang version 19.0.0git (https://github.com/RadeonOpenCompute/llvm-project roc-6.4.0 25133 c7fe45cf4b819c5991fe208aaa96edf142730f1d)"
	.section	".note.GNU-stack","",@progbits
	.addrsig
	.addrsig_sym __hip_cuid_ae43a3a9aabfae7f
	.amdgpu_metadata
---
amdhsa.kernels:
  - .args:
      - .actual_access:  read_only
        .address_space:  global
        .offset:         0
        .size:           8
        .value_kind:     global_buffer
      - .offset:         8
        .size:           8
        .value_kind:     by_value
      - .actual_access:  read_only
        .address_space:  global
        .offset:         16
        .size:           8
        .value_kind:     global_buffer
      - .actual_access:  read_only
        .address_space:  global
        .offset:         24
        .size:           8
        .value_kind:     global_buffer
      - .actual_access:  read_only
        .address_space:  global
        .offset:         32
        .size:           8
        .value_kind:     global_buffer
      - .offset:         40
        .size:           8
        .value_kind:     by_value
      - .actual_access:  read_only
        .address_space:  global
        .offset:         48
        .size:           8
        .value_kind:     global_buffer
      - .actual_access:  read_only
        .address_space:  global
        .offset:         56
        .size:           8
        .value_kind:     global_buffer
      - .offset:         64
        .size:           4
        .value_kind:     by_value
      - .actual_access:  read_only
        .address_space:  global
        .offset:         72
        .size:           8
        .value_kind:     global_buffer
      - .actual_access:  read_only
        .address_space:  global
        .offset:         80
        .size:           8
        .value_kind:     global_buffer
      - .actual_access:  read_only
        .address_space:  global
        .offset:         88
        .size:           8
        .value_kind:     global_buffer
      - .actual_access:  write_only
        .address_space:  global
        .offset:         96
        .size:           8
        .value_kind:     global_buffer
    .group_segment_fixed_size: 0
    .kernarg_segment_align: 8
    .kernarg_segment_size: 104
    .language:       OpenCL C
    .language_version:
      - 2
      - 0
    .max_flat_workgroup_size: 125
    .name:           fft_rtc_fwd_len3125_factors_5_5_5_5_5_wgs_125_tpt_125_halfLds_sp_op_CI_CI_unitstride_sbrr_dirReg
    .private_segment_fixed_size: 0
    .sgpr_count:     41
    .sgpr_spill_count: 0
    .symbol:         fft_rtc_fwd_len3125_factors_5_5_5_5_5_wgs_125_tpt_125_halfLds_sp_op_CI_CI_unitstride_sbrr_dirReg.kd
    .uniform_work_group_size: 1
    .uses_dynamic_stack: false
    .vgpr_count:     101
    .vgpr_spill_count: 0
    .wavefront_size: 32
    .workgroup_processor_mode: 1
amdhsa.target:   amdgcn-amd-amdhsa--gfx1201
amdhsa.version:
  - 1
  - 2
...

	.end_amdgpu_metadata
